;; amdgpu-corpus repo=ROCm/rocFFT kind=compiled arch=gfx1100 opt=O3
	.text
	.amdgcn_target "amdgcn-amd-amdhsa--gfx1100"
	.amdhsa_code_object_version 6
	.protected	bluestein_single_back_len2880_dim1_dp_op_CI_CI ; -- Begin function bluestein_single_back_len2880_dim1_dp_op_CI_CI
	.globl	bluestein_single_back_len2880_dim1_dp_op_CI_CI
	.p2align	8
	.type	bluestein_single_back_len2880_dim1_dp_op_CI_CI,@function
bluestein_single_back_len2880_dim1_dp_op_CI_CI: ; @bluestein_single_back_len2880_dim1_dp_op_CI_CI
; %bb.0:
	s_load_b128 s[16:19], s[0:1], 0x28
	v_mul_u32_u24_e32 v1, 0x2ab, v0
	s_mov_b32 s2, exec_lo
	v_mov_b32_e32 v3, 0
	s_delay_alu instid0(VALU_DEP_2) | instskip(NEXT) | instid1(VALU_DEP_1)
	v_lshrrev_b32_e32 v1, 16, v1
	v_add_nc_u32_e32 v2, s15, v1
	s_waitcnt lgkmcnt(0)
	s_delay_alu instid0(VALU_DEP_1)
	v_cmpx_gt_u64_e64 s[16:17], v[2:3]
	s_cbranch_execz .LBB0_2
; %bb.1:
	s_clause 0x1
	s_load_b128 s[4:7], s[0:1], 0x18
	s_load_b128 s[8:11], s[0:1], 0x0
	v_mul_lo_u16 v1, 0x60, v1
	v_mov_b32_e32 v4, v2
	s_mov_b32 s20, 0x134454ff
	s_mov_b32 s21, 0x3fee6f0e
	;; [unrolled: 1-line block ×3, first 2 shown]
	v_sub_nc_u16 v5, v0, v1
	s_mov_b32 s22, s20
	s_mov_b32 s24, 0x9b97f4a8
	;; [unrolled: 1-line block ×4, first 2 shown]
	v_and_b32_e32 v252, 0xffff, v5
	s_mov_b32 s28, s24
	s_mov_b32 s27, 0xbfd3c6ef
	s_load_b64 s[0:1], s[0:1], 0x38
	s_waitcnt lgkmcnt(0)
	s_load_b128 s[12:15], s[4:5], 0x0
	s_waitcnt lgkmcnt(0)
	v_mad_u64_u32 v[0:1], null, s14, v2, 0
	v_mad_u64_u32 v[2:3], null, s12, v252, 0
	s_mul_hi_u32 s4, s12, 0x1200
	s_mul_i32 s3, s12, 0x1200
	s_add_u32 s14, s8, 0xb400
	s_mul_hi_u32 s16, s12, 0x2400
	s_mul_i32 s5, s12, 0x2400
	s_delay_alu instid0(VALU_DEP_1) | instskip(SKIP_1) | instid1(VALU_DEP_1)
	v_mad_u64_u32 v[6:7], null, s15, v4, v[1:2]
	s_addc_u32 s15, s9, 0
	v_mov_b32_e32 v1, v6
	v_mad_u64_u32 v[7:8], null, s13, v252, v[3:4]
	v_or_b32_e32 v253, 0x480, v252
	v_or_b32_e32 v10, 0x900, v252
	;; [unrolled: 1-line block ×4, first 2 shown]
	v_lshlrev_b64 v[0:1], 4, v[0:1]
	v_or_b32_e32 v34, 0x780, v252
	v_mov_b32_e32 v3, v7
	v_mad_u64_u32 v[6:7], null, s12, v253, 0
	v_mad_u64_u32 v[8:9], null, s12, v10, 0
	;; [unrolled: 1-line block ×4, first 2 shown]
	v_mov_b32_e32 v13, v10
	v_lshlrev_b64 v[2:3], 4, v[2:3]
	v_mad_u64_u32 v[10:11], null, s13, v253, v[7:8]
	v_add_co_u32 v36, vcc_lo, s18, v0
	v_mad_u64_u32 v[18:19], null, s13, v254, v[15:16]
	v_add_co_ci_u32_e32 v37, vcc_lo, s19, v1, vcc_lo
	s_delay_alu instid0(VALU_DEP_3) | instskip(SKIP_1) | instid1(VALU_DEP_3)
	v_add_co_u32 v30, vcc_lo, v36, v2
	v_mov_b32_e32 v7, v10
	v_add_co_ci_u32_e32 v31, vcc_lo, v37, v3, vcc_lo
	v_mad_u64_u32 v[19:20], null, s13, v21, v[17:18]
	v_dual_mov_b32 v15, v18 :: v_dual_lshlrev_b32 v20, 4, v21
	v_lshlrev_b32_e32 v18, 4, v254
	v_mad_u64_u32 v[11:12], null, s13, v13, v[9:10]
	s_clause 0x1
	scratch_store_b64 off, v[4:5], off offset:4
	scratch_store_b32 off, v13, off
	v_lshlrev_b32_e32 v4, 4, v252
	v_lshlrev_b32_e32 v10, 4, v13
	global_load_b128 v[52:55], v4, s[8:9]
	global_load_b128 v[0:3], v[30:31], off
	v_mov_b32_e32 v9, v11
	v_dual_mov_b32 v38, v34 :: v_dual_lshlrev_b32 v11, 4, v253
	scratch_store_b32 off, v10, off offset:516 ; 4-byte Folded Spill
	v_lshlrev_b64 v[6:7], 4, v[6:7]
	v_lshlrev_b64 v[8:9], 4, v[8:9]
	scratch_store_b32 off, v11, off offset:512 ; 4-byte Folded Spill
	s_clause 0x1
	global_load_b128 v[48:51], v11, s[8:9]
	global_load_b128 v[56:59], v10, s[8:9]
	v_or_b32_e32 v26, 0xa80, v252
	v_or_b32_e32 v255, 0x300, v252
	v_add_co_u32 v6, vcc_lo, v36, v6
	v_add_co_u32 v10, s2, v36, v8
	v_add_co_ci_u32_e32 v7, vcc_lo, v37, v7, vcc_lo
	v_add_co_ci_u32_e64 v11, vcc_lo, v37, v9, s2
	v_mad_u64_u32 v[22:23], null, s12, v26, 0
	s_clause 0x1
	global_load_b128 v[6:9], v[6:7], off
	global_load_b128 v[10:13], v[10:11], off
	v_mad_u64_u32 v[24:25], null, s12, v255, 0
	v_mov_b32_e32 v29, v26
	v_lshlrev_b64 v[14:15], 4, v[14:15]
	s_clause 0x2
	scratch_store_b32 off, v21, off offset:12
	scratch_store_b32 off, v20, off offset:532
	;; [unrolled: 1-line block ×3, first 2 shown]
	global_load_b128 v[76:79], v18, s[8:9]
	v_mad_u64_u32 v[26:27], null, s13, v29, v[23:24]
	v_add_co_u32 v14, vcc_lo, v36, v14
	v_add_co_ci_u32_e32 v15, vcc_lo, v37, v15, vcc_lo
	v_mad_u64_u32 v[32:33], null, s12, v34, 0
	s_delay_alu instid0(VALU_DEP_4) | instskip(SKIP_2) | instid1(VALU_DEP_4)
	v_mad_u64_u32 v[27:28], null, s13, v255, v[25:26]
	v_dual_mov_b32 v17, v19 :: v_dual_lshlrev_b32 v28, 4, v255
	v_dual_mov_b32 v23, v26 :: v_dual_lshlrev_b32 v26, 4, v29
	v_mad_u64_u32 v[34:35], null, s13, v38, v[33:34]
	s_delay_alu instid0(VALU_DEP_3) | instskip(SKIP_2) | instid1(VALU_DEP_1)
	v_lshlrev_b64 v[16:17], 4, v[16:17]
	v_mov_b32_e32 v25, v27
	v_add_co_u32 v92, s2, s8, v4
	v_add_co_ci_u32_e64 v93, null, s9, 0, s2
	s_delay_alu instid0(VALU_DEP_4)
	v_add_co_u32 v18, vcc_lo, v36, v16
	v_add_co_ci_u32_e32 v19, vcc_lo, v37, v17, vcc_lo
	global_load_b128 v[14:17], v[14:15], off
	global_load_b128 v[72:75], v20, s[8:9]
	s_clause 0x2
	scratch_store_b32 off, v29, off offset:16
	scratch_store_b32 off, v26, off offset:524
	;; [unrolled: 1-line block ×3, first 2 shown]
	global_load_b128 v[18:21], v[18:19], off
	global_load_b128 v[68:71], v26, s[8:9]
	v_mov_b32_e32 v33, v34
	s_mul_i32 s2, s13, 0x1200
	v_lshlrev_b32_e32 v35, 4, v38
	s_add_i32 s2, s4, s2
	s_mul_i32 s4, s13, 0x2400
	v_lshlrev_b64 v[32:33], 4, v[32:33]
	s_add_i32 s4, s16, s4
	s_mul_i32 s16, s13, 0xffff6400
	s_mul_i32 s13, s13, 0xffff7600
	s_sub_i32 s16, s16, s12
	s_mov_b32 s19, 0xbfe2cf23
	s_waitcnt vmcnt(9)
	v_mul_f64 v[40:41], v[2:3], v[54:55]
	v_mul_f64 v[42:43], v[0:1], v[54:55]
	s_waitcnt vmcnt(8)
	v_dual_mov_b32 v87, v51 :: v_dual_mov_b32 v84, v48
	v_lshlrev_b64 v[22:23], 4, v[22:23]
	v_mov_b32_e32 v86, v50
	v_lshlrev_b64 v[24:25], 4, v[24:25]
	v_mov_b32_e32 v85, v49
	s_delay_alu instid0(VALU_DEP_4) | instskip(SKIP_1) | instid1(VALU_DEP_4)
	v_add_co_u32 v22, vcc_lo, v36, v22
	v_add_co_ci_u32_e32 v23, vcc_lo, v37, v23, vcc_lo
	v_add_co_u32 v26, vcc_lo, v36, v24
	v_add_co_ci_u32_e32 v27, vcc_lo, v37, v25, vcc_lo
	global_load_b128 v[22:25], v[22:23], off
	global_load_b128 v[64:67], v28, s[8:9]
	global_load_b128 v[26:29], v[26:27], off
	v_add_co_u32 v94, vcc_lo, 0x1000, v92
	v_add_co_ci_u32_e32 v95, vcc_lo, 0, v93, vcc_lo
	v_add_co_u32 v32, vcc_lo, v36, v32
	v_add_co_ci_u32_e32 v33, vcc_lo, v37, v33, vcc_lo
	s_clause 0x1
	scratch_store_b32 off, v38, off offset:20
	scratch_store_b32 off, v35, off offset:520
	v_add_co_u32 v38, vcc_lo, v30, s3
	v_add_co_ci_u32_e32 v39, vcc_lo, s2, v31, vcc_lo
	global_load_b128 v[60:63], v35, s[8:9]
	global_load_b128 v[30:33], v[32:33], off
	global_load_b128 v[80:83], v[94:95], off offset:512
	global_load_b128 v[34:37], v[38:39], off
	v_fma_f64 v[0:1], v[0:1], v[52:53], v[40:41]
	s_waitcnt vmcnt(12)
	v_mul_f64 v[40:41], v[10:11], v[58:59]
	v_mul_f64 v[44:45], v[8:9], v[50:51]
	;; [unrolled: 1-line block ×4, first 2 shown]
	v_fma_f64 v[2:3], v[2:3], v[52:53], -v[42:43]
	s_clause 0x2
	scratch_store_b128 off, v[52:55], off offset:184
	scratch_store_b128 off, v[84:87], off offset:120
	scratch_store_b128 off, v[56:59], off offset:104
	s_waitcnt vmcnt(11)
	scratch_store_b128 off, v[76:79], off offset:88 ; 16-byte Folded Spill
	s_waitcnt vmcnt(10)
	v_mul_f64 v[42:43], v[16:17], v[78:79]
	s_waitcnt vmcnt(9)
	scratch_store_b128 off, v[72:75], off offset:72 ; 16-byte Folded Spill
	s_waitcnt vmcnt(7)
	scratch_store_b128 off, v[68:71], off offset:56 ; 16-byte Folded Spill
	v_fma_f64 v[12:13], v[12:13], v[56:57], -v[40:41]
	v_mul_f64 v[40:41], v[18:19], v[74:75]
	v_fma_f64 v[6:7], v[6:7], v[84:85], v[44:45]
	v_mul_f64 v[44:45], v[14:15], v[78:79]
	v_fma_f64 v[8:9], v[8:9], v[84:85], -v[46:47]
	v_mul_f64 v[46:47], v[20:21], v[74:75]
	v_fma_f64 v[10:11], v[10:11], v[56:57], v[48:49]
	v_fma_f64 v[14:15], v[14:15], v[76:77], v[42:43]
	v_fma_f64 v[20:21], v[20:21], v[72:73], -v[40:41]
	v_fma_f64 v[16:17], v[16:17], v[76:77], -v[44:45]
	v_fma_f64 v[18:19], v[18:19], v[72:73], v[46:47]
	s_waitcnt vmcnt(6)
	v_mul_f64 v[48:49], v[24:25], v[70:71]
	s_waitcnt vmcnt(5)
	scratch_store_b128 off, v[64:67], off offset:40 ; 16-byte Folded Spill
	s_waitcnt vmcnt(4)
	v_mul_f64 v[40:41], v[26:27], v[66:67]
	v_mul_f64 v[44:45], v[28:29], v[66:67]
	v_add_co_u32 v66, vcc_lo, 0x2000, v92
	v_add_co_ci_u32_e32 v67, vcc_lo, 0, v93, vcc_lo
	v_mul_f64 v[42:43], v[22:23], v[70:71]
	global_load_b128 v[50:53], v[66:67], off offset:1024
	s_waitcnt vmcnt(4)
	scratch_store_b128 off, v[60:63], off offset:24 ; 16-byte Folded Spill
	s_waitcnt vmcnt(3)
	v_mul_f64 v[46:47], v[32:33], v[62:63]
	s_waitcnt vmcnt(2)
	scratch_store_b128 off, v[80:83], off offset:296 ; 16-byte Folded Spill
	v_fma_f64 v[22:23], v[22:23], v[68:69], v[48:49]
	s_waitcnt vmcnt(1)
	v_mul_f64 v[48:49], v[36:37], v[82:83]
	v_fma_f64 v[28:29], v[28:29], v[64:65], -v[40:41]
	v_mul_f64 v[40:41], v[34:35], v[82:83]
	v_fma_f64 v[26:27], v[26:27], v[64:65], v[44:45]
	v_add_co_u32 v44, vcc_lo, v38, s3
	v_add_co_ci_u32_e32 v45, vcc_lo, s2, v39, vcc_lo
	v_fma_f64 v[24:25], v[24:25], v[68:69], -v[42:43]
	v_mul_f64 v[42:43], v[30:31], v[62:63]
	v_fma_f64 v[30:31], v[30:31], v[60:61], v[46:47]
	v_fma_f64 v[34:35], v[34:35], v[80:81], v[48:49]
	v_fma_f64 v[36:37], v[36:37], v[80:81], -v[40:41]
	global_load_b128 v[38:41], v[44:45], off
	v_fma_f64 v[32:33], v[32:33], v[60:61], -v[42:43]
	s_waitcnt vmcnt(1)
	scratch_store_b128 off, v[50:53], off offset:280 ; 16-byte Folded Spill
	s_waitcnt vmcnt(0)
	v_mul_f64 v[46:47], v[38:39], v[52:53]
	v_mul_f64 v[42:43], v[40:41], v[52:53]
	s_delay_alu instid0(VALU_DEP_2)
	v_fma_f64 v[40:41], v[40:41], v[50:51], -v[46:47]
	v_add_co_u32 v46, vcc_lo, v44, s3
	v_add_co_ci_u32_e32 v47, vcc_lo, s2, v45, vcc_lo
	v_add_co_u32 v70, vcc_lo, 0x3000, v92
	v_add_co_ci_u32_e32 v71, vcc_lo, 0, v93, vcc_lo
	v_fma_f64 v[38:39], v[38:39], v[50:51], v[42:43]
	global_load_b128 v[42:45], v[46:47], off
	global_load_b128 v[52:55], v[70:71], off offset:1536
	s_waitcnt vmcnt(0)
	v_mul_f64 v[50:51], v[42:43], v[54:55]
	v_mul_f64 v[48:49], v[44:45], v[54:55]
	scratch_store_b128 off, v[52:55], off offset:360 ; 16-byte Folded Spill
	v_fma_f64 v[44:45], v[44:45], v[52:53], -v[50:51]
	v_add_co_u32 v50, vcc_lo, v46, s5
	v_add_co_ci_u32_e32 v51, vcc_lo, s4, v47, vcc_lo
	v_add_co_u32 v102, vcc_lo, 0x5000, v92
	v_add_co_ci_u32_e32 v103, vcc_lo, 0, v93, vcc_lo
	v_fma_f64 v[42:43], v[42:43], v[52:53], v[48:49]
	global_load_b128 v[56:59], v[102:103], off offset:2560
	global_load_b128 v[46:49], v[50:51], off
	global_load_b128 v[80:83], v4, s[8:9] offset:1536
	s_waitcnt vmcnt(1)
	v_mul_f64 v[54:55], v[46:47], v[58:59]
	v_mul_f64 v[52:53], v[48:49], v[58:59]
	s_waitcnt vmcnt(0)
	scratch_store_b128 off, v[80:83], off offset:456 ; 16-byte Folded Spill
	v_fma_f64 v[48:49], v[48:49], v[56:57], -v[54:55]
	v_add_co_u32 v54, vcc_lo, v50, s3
	v_add_co_ci_u32_e32 v55, vcc_lo, s2, v51, vcc_lo
	v_add_co_u32 v106, vcc_lo, 0x6000, v92
	v_add_co_ci_u32_e32 v107, vcc_lo, 0, v93, vcc_lo
	v_fma_f64 v[46:47], v[46:47], v[56:57], v[52:53]
	global_load_b128 v[50:53], v[54:55], off
	global_load_b128 v[60:63], v[106:107], off offset:3072
	scratch_store_b128 off, v[56:59], off offset:424 ; 16-byte Folded Spill
	s_waitcnt vmcnt(0)
	scratch_store_b128 off, v[60:63], off offset:472 ; 16-byte Folded Spill
	v_mul_f64 v[58:59], v[50:51], v[62:63]
	v_mul_f64 v[56:57], v[52:53], v[62:63]
	s_delay_alu instid0(VALU_DEP_2)
	v_fma_f64 v[52:53], v[52:53], v[60:61], -v[58:59]
	v_add_co_u32 v58, vcc_lo, v54, s3
	v_add_co_ci_u32_e32 v59, vcc_lo, s2, v55, vcc_lo
	v_add_co_u32 v78, vcc_lo, 0x7000, v92
	v_add_co_ci_u32_e32 v79, vcc_lo, 0, v93, vcc_lo
	v_fma_f64 v[50:51], v[50:51], v[60:61], v[56:57]
	global_load_b128 v[54:57], v[58:59], off
	global_load_b128 v[72:75], v[78:79], off offset:3584
	s_waitcnt vmcnt(0)
	v_mul_f64 v[62:63], v[54:55], v[74:75]
	v_mul_f64 v[60:61], v[56:57], v[74:75]
	scratch_store_b128 off, v[72:75], off offset:488 ; 16-byte Folded Spill
	v_fma_f64 v[56:57], v[56:57], v[72:73], -v[62:63]
	v_add_co_u32 v62, vcc_lo, v58, s5
	v_add_co_ci_u32_e32 v63, vcc_lo, s4, v59, vcc_lo
	v_add_co_u32 v118, vcc_lo, 0xa000, v92
	v_add_co_ci_u32_e32 v119, vcc_lo, 0, v93, vcc_lo
	v_fma_f64 v[54:55], v[54:55], v[72:73], v[60:61]
	global_load_b128 v[58:61], v[62:63], off
	global_load_b128 v[72:75], v[118:119], off offset:512
	s_waitcnt vmcnt(0)
	v_mul_f64 v[68:69], v[58:59], v[74:75]
	v_mul_f64 v[64:65], v[60:61], v[74:75]
	scratch_store_b128 off, v[72:75], off offset:440 ; 16-byte Folded Spill
	v_fma_f64 v[60:61], v[60:61], v[72:73], -v[68:69]
	v_mad_u64_u32 v[68:69], null, 0xffff6400, s12, v[62:63]
	v_fma_f64 v[58:59], v[58:59], v[72:73], v[64:65]
	s_delay_alu instid0(VALU_DEP_2)
	v_add_nc_u32_e32 v69, s16, v69
	s_mov_b32 s16, 0x372fe950
	s_mov_b32 s17, 0x3fd3c6ef
	;; [unrolled: 1-line block ×3, first 2 shown]
	global_load_b128 v[62:65], v[68:69], off
	s_waitcnt vmcnt(0)
	v_mul_f64 v[72:73], v[64:65], v[82:83]
	v_mul_f64 v[74:75], v[62:63], v[82:83]
	s_delay_alu instid0(VALU_DEP_2) | instskip(SKIP_2) | instid1(VALU_DEP_4)
	v_fma_f64 v[62:63], v[62:63], v[80:81], v[72:73]
	v_add_co_u32 v72, vcc_lo, v68, s5
	v_add_co_ci_u32_e32 v73, vcc_lo, s4, v69, vcc_lo
	v_fma_f64 v[64:65], v[64:65], v[80:81], -v[74:75]
	global_load_b128 v[80:83], v[66:67], off offset:2560
	global_load_b128 v[66:69], v[72:73], off
	s_waitcnt vmcnt(1)
	scratch_store_b128 off, v[80:83], off offset:376 ; 16-byte Folded Spill
	s_waitcnt vmcnt(0)
	v_mul_f64 v[74:75], v[68:69], v[82:83]
	v_mul_f64 v[76:77], v[66:67], v[82:83]
	global_load_b128 v[82:85], v[70:71], off offset:3072
	v_fma_f64 v[66:67], v[66:67], v[80:81], v[74:75]
	v_add_co_u32 v74, vcc_lo, v72, s3
	v_add_co_ci_u32_e32 v75, vcc_lo, s2, v73, vcc_lo
	v_fma_f64 v[68:69], v[68:69], v[80:81], -v[76:77]
	global_load_b128 v[70:73], v[74:75], off
	s_waitcnt vmcnt(0)
	v_mul_f64 v[80:81], v[70:71], v[84:85]
	v_mul_f64 v[76:77], v[72:73], v[84:85]
	s_delay_alu instid0(VALU_DEP_2)
	v_fma_f64 v[72:73], v[72:73], v[82:83], -v[80:81]
	v_add_co_u32 v80, vcc_lo, v74, s3
	v_add_co_ci_u32_e32 v81, vcc_lo, s2, v75, vcc_lo
	v_add_co_u32 v98, vcc_lo, 0x4000, v92
	v_add_co_ci_u32_e32 v99, vcc_lo, 0, v93, vcc_lo
	v_fma_f64 v[70:71], v[70:71], v[82:83], v[76:77]
	global_load_b128 v[74:77], v[80:81], off
	global_load_b128 v[86:89], v[98:99], off offset:3584
	scratch_store_b128 off, v[82:85], off offset:392 ; 16-byte Folded Spill
	s_waitcnt vmcnt(0)
	scratch_store_b128 off, v[86:89], off offset:408 ; 16-byte Folded Spill
	v_mul_f64 v[82:83], v[76:77], v[88:89]
	v_mul_f64 v[84:85], v[74:75], v[88:89]
	global_load_b128 v[88:91], v[78:79], off offset:512
	v_fma_f64 v[74:75], v[74:75], v[86:87], v[82:83]
	v_add_co_u32 v82, vcc_lo, v80, s5
	v_add_co_ci_u32_e32 v83, vcc_lo, s4, v81, vcc_lo
	v_fma_f64 v[76:77], v[76:77], v[86:87], -v[84:85]
	global_load_b128 v[78:81], v[82:83], off
	s_waitcnt vmcnt(0)
	v_mul_f64 v[86:87], v[78:79], v[90:91]
	v_mul_f64 v[84:85], v[80:81], v[90:91]
	s_delay_alu instid0(VALU_DEP_2)
	v_fma_f64 v[80:81], v[80:81], v[88:89], -v[86:87]
	v_add_co_u32 v86, vcc_lo, v82, s3
	v_add_co_ci_u32_e32 v87, vcc_lo, s2, v83, vcc_lo
	v_add_co_u32 v110, vcc_lo, 0x8000, v92
	v_add_co_ci_u32_e32 v111, vcc_lo, 0, v93, vcc_lo
	v_fma_f64 v[78:79], v[78:79], v[88:89], v[84:85]
	global_load_b128 v[82:85], v[86:87], off
	global_load_b128 v[112:115], v[110:111], off offset:1024
	scratch_store_b128 off, v[88:91], off offset:344 ; 16-byte Folded Spill
	s_waitcnt vmcnt(0)
	scratch_store_b128 off, v[112:115], off offset:312 ; 16-byte Folded Spill
	v_mul_f64 v[90:91], v[82:83], v[114:115]
	v_mul_f64 v[88:89], v[84:85], v[114:115]
	s_delay_alu instid0(VALU_DEP_2)
	v_fma_f64 v[84:85], v[84:85], v[112:113], -v[90:91]
	v_add_co_u32 v90, vcc_lo, v86, s3
	v_add_co_ci_u32_e32 v91, vcc_lo, s2, v87, vcc_lo
	v_add_co_u32 v114, vcc_lo, 0x9000, v92
	v_add_co_ci_u32_e32 v115, vcc_lo, 0, v93, vcc_lo
	global_load_b128 v[120:123], v[114:115], off offset:1536
	v_fma_f64 v[82:83], v[82:83], v[112:113], v[88:89]
	global_load_b128 v[86:89], v[90:91], off
	s_waitcnt vmcnt(1)
	scratch_store_b128 off, v[120:123], off offset:328 ; 16-byte Folded Spill
	s_waitcnt vmcnt(0)
	v_mul_f64 v[96:97], v[86:87], v[122:123]
	v_mul_f64 v[92:93], v[88:89], v[122:123]
	s_delay_alu instid0(VALU_DEP_2) | instskip(SKIP_2) | instid1(VALU_DEP_3)
	v_fma_f64 v[88:89], v[88:89], v[120:121], -v[96:97]
	v_mad_u64_u32 v[96:97], null, 0xffff7600, s12, v[90:91]
	s_sub_i32 s12, s13, s12
	v_fma_f64 v[86:87], v[86:87], v[120:121], v[92:93]
	global_load_b128 v[120:123], v4, s[8:9] offset:3072
	s_mov_b32 s9, 0xbfebb67a
	v_add_nc_u32_e32 v97, s12, v97
	s_mov_b32 s12, 0x4755a5e
	s_mov_b32 s13, 0x3fe2cf23
	;; [unrolled: 1-line block ×3, first 2 shown]
	global_load_b128 v[90:93], v[96:97], off
	s_waitcnt vmcnt(1)
	scratch_store_b128 off, v[120:123], off offset:264 ; 16-byte Folded Spill
	s_waitcnt vmcnt(0)
	v_mul_f64 v[100:101], v[92:93], v[122:123]
	v_mul_f64 v[104:105], v[90:91], v[122:123]
	s_delay_alu instid0(VALU_DEP_2) | instskip(SKIP_2) | instid1(VALU_DEP_4)
	v_fma_f64 v[90:91], v[90:91], v[120:121], v[100:101]
	v_add_co_u32 v100, vcc_lo, v96, s3
	v_add_co_ci_u32_e32 v101, vcc_lo, s2, v97, vcc_lo
	v_fma_f64 v[92:93], v[92:93], v[120:121], -v[104:105]
	global_load_b128 v[120:123], v[94:95], off offset:3584
	global_load_b128 v[94:97], v[100:101], off
	s_waitcnt vmcnt(1)
	scratch_store_b128 off, v[120:123], off offset:232 ; 16-byte Folded Spill
	s_waitcnt vmcnt(0)
	v_mul_f64 v[104:105], v[96:97], v[122:123]
	v_mul_f64 v[108:109], v[94:95], v[122:123]
	s_delay_alu instid0(VALU_DEP_2) | instskip(SKIP_2) | instid1(VALU_DEP_4)
	v_fma_f64 v[94:95], v[94:95], v[120:121], v[104:105]
	v_add_co_u32 v104, vcc_lo, v100, s5
	v_add_co_ci_u32_e32 v105, vcc_lo, s4, v101, vcc_lo
	v_fma_f64 v[96:97], v[96:97], v[120:121], -v[108:109]
	global_load_b128 v[120:123], v[98:99], off offset:512
	;; [unrolled: 12-line block ×3, first 2 shown]
	global_load_b128 v[102:105], v[108:109], off
	s_waitcnt vmcnt(1)
	scratch_store_b128 off, v[120:123], off offset:152 ; 16-byte Folded Spill
	s_waitcnt vmcnt(0)
	v_mul_f64 v[112:113], v[104:105], v[122:123]
	v_mul_f64 v[116:117], v[102:103], v[122:123]
	global_load_b128 v[122:125], v[106:107], off offset:1536
	v_fma_f64 v[102:103], v[102:103], v[120:121], v[112:113]
	v_add_co_u32 v112, vcc_lo, v108, s3
	v_add_co_ci_u32_e32 v113, vcc_lo, s2, v109, vcc_lo
	v_fma_f64 v[104:105], v[104:105], v[120:121], -v[116:117]
	global_load_b128 v[106:109], v[112:113], off
	s_waitcnt vmcnt(1)
	scratch_store_b128 off, v[122:125], off offset:200 ; 16-byte Folded Spill
	s_waitcnt vmcnt(0)
	v_mul_f64 v[116:117], v[108:109], v[124:125]
	v_mul_f64 v[120:121], v[106:107], v[124:125]
	global_load_b128 v[124:127], v[110:111], off offset:2560
	v_fma_f64 v[106:107], v[106:107], v[122:123], v[116:117]
	v_add_co_u32 v116, vcc_lo, v112, s5
	v_add_co_ci_u32_e32 v117, vcc_lo, s4, v113, vcc_lo
	v_fma_f64 v[108:109], v[108:109], v[122:123], -v[120:121]
	;; [unrolled: 11-line block ×3, first 2 shown]
	global_load_b128 v[114:117], v[120:121], off
	v_add_co_u32 v120, vcc_lo, v120, s3
	v_add_co_ci_u32_e32 v121, vcc_lo, s2, v121, vcc_lo
	v_cmp_gt_u16_e32 vcc_lo, 60, v5
	s_waitcnt vmcnt(1)
	scratch_store_b128 off, v[126:129], off offset:216 ; 16-byte Folded Spill
	s_waitcnt vmcnt(0)
	v_mul_f64 v[122:123], v[116:117], v[128:129]
	v_mul_f64 v[124:125], v[114:115], v[128:129]
	s_delay_alu instid0(VALU_DEP_2) | instskip(NEXT) | instid1(VALU_DEP_2)
	v_fma_f64 v[114:115], v[114:115], v[126:127], v[122:123]
	v_fma_f64 v[116:117], v[116:117], v[126:127], -v[124:125]
	global_load_b128 v[126:129], v[118:119], off offset:3584
	global_load_b128 v[118:121], v[120:121], off
	s_waitcnt vmcnt(1)
	scratch_store_b128 off, v[126:129], off offset:248 ; 16-byte Folded Spill
	s_waitcnt vmcnt(0)
	v_mul_f64 v[122:123], v[120:121], v[128:129]
	v_mul_f64 v[124:125], v[118:119], v[128:129]
	s_delay_alu instid0(VALU_DEP_2) | instskip(NEXT) | instid1(VALU_DEP_2)
	v_fma_f64 v[118:119], v[118:119], v[126:127], v[122:123]
	v_fma_f64 v[120:121], v[120:121], v[126:127], -v[124:125]
	ds_store_b128 v4, v[0:3]
	ds_store_b128 v4, v[6:9] offset:18432
	ds_store_b128 v4, v[10:13] offset:36864
	;; [unrolled: 1-line block ×29, first 2 shown]
	s_load_b128 s[4:7], s[6:7], 0x0
	s_waitcnt lgkmcnt(0)
	s_waitcnt_vscnt null, 0x0
	s_barrier
	buffer_gl0_inv
	ds_load_b128 v[14:17], v4 offset:9216
	ds_load_b128 v[0:3], v4
	ds_load_b128 v[26:29], v4 offset:18432
	ds_load_b128 v[44:47], v4 offset:36864
	;; [unrolled: 1-line block ×7, first 2 shown]
	s_waitcnt lgkmcnt(7)
	v_add_f64 v[6:7], v[0:1], v[14:15]
	v_add_f64 v[8:9], v[2:3], v[16:17]
	s_waitcnt lgkmcnt(6)
	v_add_f64 v[20:21], v[14:15], -v[26:27]
	v_add_f64 v[24:25], v[26:27], -v[14:15]
	s_waitcnt lgkmcnt(4)
	v_add_f64 v[34:35], v[26:27], -v[40:41]
	v_add_f64 v[22:23], v[16:17], -v[28:29]
	;; [unrolled: 1-line block ×3, first 2 shown]
	v_add_f64 v[12:13], v[14:15], v[44:45]
	v_add_f64 v[38:39], v[14:15], -v[44:45]
	v_add_f64 v[14:15], v[16:17], v[46:47]
	v_add_f64 v[32:33], v[28:29], -v[42:43]
	v_add_f64 v[10:11], v[28:29], v[42:43]
	v_add_f64 v[48:49], v[44:45], -v[40:41]
	v_add_f64 v[50:51], v[46:47], -v[42:43]
	v_add_f64 v[30:31], v[42:43], -v[46:47]
	s_waitcnt lgkmcnt(0)
	v_add_f64 v[132:133], v[56:57], v[68:69]
	v_add_f64 v[134:135], v[58:59], v[70:71]
	v_add_f64 v[74:75], v[70:71], -v[66:67]
	v_add_f64 v[6:7], v[6:7], v[26:27]
	v_add_f64 v[18:19], v[8:9], v[28:29]
	;; [unrolled: 1-line block ×3, first 2 shown]
	v_add_f64 v[26:27], v[28:29], -v[16:17]
	v_add_f64 v[28:29], v[40:41], -v[44:45]
	v_fma_f64 v[248:249], v[14:15], -0.5, v[2:3]
	v_fma_f64 v[246:247], v[10:11], -0.5, v[2:3]
	v_fma_f64 v[132:133], v[132:133], -0.5, v[96:97]
	v_fma_f64 v[134:135], v[134:135], -0.5, v[98:99]
	v_add_f64 v[6:7], v[6:7], v[40:41]
	v_add_f64 v[18:19], v[18:19], v[42:43]
	;; [unrolled: 1-line block ×7, first 2 shown]
	ds_load_b128 v[42:45], v4 offset:23040
	ds_load_b128 v[100:103], v4 offset:1536
	;; [unrolled: 1-line block ×3, first 2 shown]
	v_add_f64 v[18:19], v[18:19], v[46:47]
	v_add_f64 v[46:47], v[58:59], -v[70:71]
	ds_load_b128 v[104:107], v4 offset:29184
	ds_load_b128 v[108:111], v4 offset:38400
	s_waitcnt lgkmcnt(4)
	v_add_f64 v[72:73], v[40:41], v[44:45]
	v_add_f64 v[128:129], v[42:43], v[64:65]
	v_add_f64 v[40:41], v[44:45], -v[66:67]
	v_add_f64 v[60:61], v[56:57], -v[42:43]
	;; [unrolled: 1-line block ×3, first 2 shown]
	v_add_f64 v[130:131], v[44:45], v[66:67]
	v_add_f64 v[62:63], v[58:59], -v[44:45]
	v_add_f64 v[54:55], v[44:45], -v[58:59]
	;; [unrolled: 1-line block ×5, first 2 shown]
	s_waitcnt lgkmcnt(0)
	v_add_f64 v[142:143], v[82:83], v[108:109]
	v_add_f64 v[144:145], v[84:85], v[110:111]
	v_add_f64 v[92:93], v[108:109], -v[104:105]
	v_add_f64 v[94:95], v[110:111], -v[106:107]
	v_add_f64 v[6:7], v[6:7], v[42:43]
	v_add_f64 v[42:43], v[42:43], -v[64:65]
	v_add_f64 v[76:77], v[72:73], v[66:67]
	v_add_f64 v[72:73], v[68:69], -v[64:65]
	v_fma_f64 v[26:27], v[40:41], s[22:23], v[132:133]
	v_fma_f64 v[128:129], v[128:129], -0.5, v[96:97]
	v_fma_f64 v[130:131], v[130:131], -0.5, v[98:99]
	v_add_f64 v[52:53], v[52:53], v[56:57]
	v_add_f64 v[54:55], v[54:55], v[58:59]
	v_fma_f64 v[58:59], v[34:35], s[20:21], v[248:249]
	v_fma_f64 v[142:143], v[142:143], -0.5, v[100:101]
	v_fma_f64 v[144:145], v[144:145], -0.5, v[102:103]
	v_add_f64 v[6:7], v[6:7], v[64:65]
	v_add_f64 v[64:65], v[100:101], v[82:83]
	v_fma_f64 v[24:25], v[42:43], s[20:21], v[134:135]
	v_add_f64 v[136:137], v[76:77], v[70:71]
	v_add_f64 v[70:71], v[82:83], -v[108:109]
	v_fma_f64 v[26:27], v[46:47], s[12:13], v[26:27]
	v_fma_f64 v[58:59], v[38:39], s[18:19], v[58:59]
	v_add_f64 v[6:7], v[6:7], v[68:69]
	ds_load_b128 v[66:69], v4 offset:19968
	v_fma_f64 v[24:25], v[44:45], s[18:19], v[24:25]
	s_waitcnt lgkmcnt(0)
	v_add_f64 v[86:87], v[64:65], v[66:67]
	v_add_f64 v[64:65], v[102:103], v[84:85]
	;; [unrolled: 1-line block ×3, first 2 shown]
	v_add_f64 v[80:81], v[82:83], -v[66:67]
	v_add_f64 v[76:77], v[66:67], -v[82:83]
	v_add_f64 v[140:141], v[68:69], v[106:107]
	v_add_f64 v[66:67], v[66:67], -v[104:105]
	v_add_f64 v[88:89], v[84:85], -v[68:69]
	;; [unrolled: 1-line block ×4, first 2 shown]
	v_fma_f64 v[26:27], v[52:53], s[16:17], v[26:27]
	v_fma_f64 v[58:59], v[30:31], s[16:17], v[58:59]
	v_add_f64 v[14:15], v[18:19], -v[136:137]
	v_fma_f64 v[24:25], v[54:55], s[16:17], v[24:25]
	v_add_f64 v[86:87], v[86:87], v[104:105]
	v_add_f64 v[90:91], v[64:65], v[68:69]
	v_add_f64 v[64:65], v[68:69], -v[106:107]
	v_add_f64 v[68:69], v[84:85], -v[110:111]
	;; [unrolled: 1-line block ×3, first 2 shown]
	v_fma_f64 v[138:139], v[138:139], -0.5, v[100:101]
	v_add_f64 v[100:101], v[16:17], v[6:7]
	v_fma_f64 v[140:141], v[140:141], -0.5, v[102:103]
	v_add_f64 v[102:103], v[18:19], v[136:137]
	v_mul_f64 v[56:57], v[24:25], s[20:21]
	v_add_f64 v[146:147], v[86:87], v[108:109]
	v_add_f64 v[90:91], v[90:91], v[106:107]
	s_delay_alu instid0(VALU_DEP_3) | instskip(SKIP_1) | instid1(VALU_DEP_3)
	v_fma_f64 v[56:57], v[26:27], s[16:17], v[56:57]
	v_mul_f64 v[26:27], v[26:27], s[22:23]
	v_add_f64 v[148:149], v[90:91], v[110:111]
	ds_load_b128 v[104:107], v4 offset:15360
	ds_load_b128 v[108:111], v4 offset:6144
	;; [unrolled: 1-line block ×4, first 2 shown]
	v_fma_f64 v[26:27], v[24:25], s[16:17], v[26:27]
	s_waitcnt lgkmcnt(2)
	v_add_f64 v[86:87], v[108:109], v[104:105]
	s_waitcnt lgkmcnt(1)
	v_add_f64 v[152:153], v[104:105], -v[112:113]
	s_waitcnt lgkmcnt(0)
	v_add_f64 v[150:151], v[112:113], v[116:117]
	v_add_f64 v[154:155], v[112:113], -v[104:105]
	v_add_f64 v[156:157], v[114:115], v[118:119]
	v_add_f64 v[90:91], v[112:113], -v[116:117]
	v_add_f64 v[158:159], v[106:107], -v[114:115]
	;; [unrolled: 1-line block ×3, first 2 shown]
	v_add_f64 v[120:121], v[86:87], v[112:113]
	v_add_f64 v[86:87], v[110:111], v[106:107]
	v_fma_f64 v[150:151], v[150:151], -0.5, v[108:109]
	v_fma_f64 v[156:157], v[156:157], -0.5, v[110:111]
	s_delay_alu instid0(VALU_DEP_3)
	v_add_f64 v[122:123], v[86:87], v[114:115]
	v_add_f64 v[86:87], v[114:115], -v[118:119]
	ds_load_b128 v[112:115], v4 offset:43008
	s_waitcnt lgkmcnt(0)
	v_add_f64 v[162:163], v[106:107], -v[114:115]
	v_add_f64 v[164:165], v[104:105], v[112:113]
	v_add_f64 v[166:167], v[104:105], -v[112:113]
	v_add_f64 v[168:169], v[106:107], v[114:115]
	v_add_f64 v[104:105], v[120:121], v[116:117]
	v_add_f64 v[170:171], v[112:113], -v[116:117]
	v_add_f64 v[172:173], v[116:117], -v[112:113]
	;; [unrolled: 1-line block ×4, first 2 shown]
	v_add_f64 v[106:107], v[122:123], v[118:119]
	v_fma_f64 v[164:165], v[164:165], -0.5, v[108:109]
	v_fma_f64 v[168:169], v[168:169], -0.5, v[110:111]
	v_add_f64 v[178:179], v[104:105], v[112:113]
	s_delay_alu instid0(VALU_DEP_4)
	v_add_f64 v[180:181], v[106:107], v[114:115]
	ds_load_b128 v[104:107], v4 offset:3072
	ds_load_b128 v[112:115], v4 offset:12288
	;; [unrolled: 1-line block ×3, first 2 shown]
	s_waitcnt lgkmcnt(1)
	v_add_f64 v[120:121], v[104:105], v[112:113]
	s_waitcnt lgkmcnt(0)
	v_add_f64 v[186:187], v[112:113], -v[116:117]
	v_add_f64 v[188:189], v[116:117], -v[112:113]
	;; [unrolled: 1-line block ×5, first 2 shown]
	v_add_f64 v[10:11], v[148:149], v[180:181]
	v_add_f64 v[98:99], v[148:149], -v[180:181]
	v_add_f64 v[124:125], v[120:121], v[116:117]
	v_add_f64 v[120:121], v[106:107], v[114:115]
	s_delay_alu instid0(VALU_DEP_1)
	v_add_f64 v[126:127], v[120:121], v[118:119]
	ds_load_b128 v[120:123], v4 offset:30720
	s_waitcnt lgkmcnt(0)
	v_add_f64 v[182:183], v[116:117], v[120:121]
	v_add_f64 v[184:185], v[118:119], -v[122:123]
	v_add_f64 v[190:191], v[118:119], v[122:123]
	v_add_f64 v[192:193], v[116:117], -v[120:121]
	ds_load_b128 v[116:119], v4 offset:39936
	s_waitcnt lgkmcnt(0)
	v_add_f64 v[198:199], v[114:115], -v[118:119]
	v_add_f64 v[200:201], v[112:113], v[116:117]
	v_add_f64 v[202:203], v[112:113], -v[116:117]
	v_add_f64 v[204:205], v[114:115], v[118:119]
	v_add_f64 v[112:113], v[124:125], v[120:121]
	;; [unrolled: 1-line block ×3, first 2 shown]
	v_add_f64 v[206:207], v[116:117], -v[120:121]
	v_add_f64 v[208:209], v[120:121], -v[116:117]
	v_add_f64 v[210:211], v[118:119], -v[122:123]
	v_add_f64 v[212:213], v[122:123], -v[118:119]
	v_fma_f64 v[182:183], v[182:183], -0.5, v[104:105]
	v_fma_f64 v[190:191], v[190:191], -0.5, v[106:107]
	;; [unrolled: 1-line block ×4, first 2 shown]
	v_add_f64 v[214:215], v[112:113], v[116:117]
	v_add_f64 v[216:217], v[114:115], v[118:119]
	ds_load_b128 v[112:115], v4 offset:7680
	ds_load_b128 v[116:119], v4 offset:16896
	;; [unrolled: 1-line block ×3, first 2 shown]
	s_waitcnt lgkmcnt(1)
	v_add_f64 v[124:125], v[112:113], v[116:117]
	s_waitcnt lgkmcnt(0)
	v_add_f64 v[226:227], v[116:117], -v[120:121]
	v_add_f64 v[228:229], v[120:121], -v[116:117]
	;; [unrolled: 1-line block ×4, first 2 shown]
	v_add_f64 v[218:219], v[124:125], v[120:121]
	v_add_f64 v[124:125], v[114:115], v[118:119]
	s_delay_alu instid0(VALU_DEP_1)
	v_add_f64 v[220:221], v[124:125], v[122:123]
	ds_load_b128 v[124:127], v4 offset:35328
	s_waitcnt lgkmcnt(0)
	v_add_f64 v[222:223], v[120:121], v[124:125]
	v_add_f64 v[224:225], v[122:123], -v[126:127]
	v_add_f64 v[230:231], v[122:123], v[126:127]
	v_add_f64 v[232:233], v[120:121], -v[124:125]
	ds_load_b128 v[120:123], v4 offset:44544
	s_waitcnt lgkmcnt(0)
	s_barrier
	buffer_gl0_inv
	v_add_f64 v[238:239], v[118:119], -v[122:123]
	v_add_f64 v[240:241], v[116:117], v[120:121]
	v_add_f64 v[242:243], v[116:117], -v[120:121]
	v_add_f64 v[116:117], v[118:119], v[122:123]
	v_add_f64 v[118:119], v[218:219], v[124:125]
	;; [unrolled: 1-line block ×3, first 2 shown]
	v_add_f64 v[220:221], v[120:121], -v[124:125]
	v_add_f64 v[124:125], v[124:125], -v[120:121]
	;; [unrolled: 1-line block ×4, first 2 shown]
	v_fma_f64 v[222:223], v[222:223], -0.5, v[112:113]
	v_fma_f64 v[230:231], v[230:231], -0.5, v[114:115]
	;; [unrolled: 1-line block ×3, first 2 shown]
	v_add_f64 v[111:112], v[58:59], v[26:27]
	v_fma_f64 v[250:251], v[116:117], -0.5, v[114:115]
	v_add_f64 v[118:119], v[118:119], v[120:121]
	v_add_f64 v[120:121], v[218:219], v[122:123]
	v_fma_f64 v[218:219], v[12:13], -0.5, v[0:1]
	v_add_f64 v[12:13], v[16:17], -v[6:7]
	v_add_f64 v[6:7], v[20:21], v[48:49]
	v_fma_f64 v[20:21], v[46:47], s[20:21], v[128:129]
	v_add_f64 v[48:49], v[22:23], v[50:51]
	v_add_f64 v[50:51], v[60:61], v[72:73]
	v_fma_f64 v[22:23], v[44:45], s[22:23], v[130:131]
	v_add_f64 v[60:61], v[62:63], v[74:75]
	v_fma_f64 v[122:123], v[8:9], -0.5, v[0:1]
	v_fma_f64 v[72:73], v[38:39], s[22:23], v[246:247]
	v_add_f64 v[74:75], v[152:153], v[170:171]
	v_add_f64 v[26:27], v[58:59], -v[26:27]
	v_add_f64 v[58:59], v[78:79], v[84:85]
	v_add_f64 v[8:9], v[146:147], v[178:179]
	;; [unrolled: 1-line block ×4, first 2 shown]
	v_fma_f64 v[24:25], v[32:33], s[22:23], v[218:219]
	v_add_f64 v[16:17], v[214:215], -v[118:119]
	v_add_f64 v[18:19], v[216:217], -v[120:121]
	v_fma_f64 v[20:21], v[40:41], s[12:13], v[20:21]
	v_add_f64 v[119:120], v[226:227], v[220:221]
	v_add_f64 v[117:118], v[194:195], v[210:211]
	v_fma_f64 v[22:23], v[42:43], s[18:19], v[22:23]
	v_fma_f64 v[72:73], v[34:35], s[18:19], v[72:73]
	v_fma_f64 v[24:25], v[36:37], s[12:13], v[24:25]
	v_fma_f64 v[20:21], v[50:51], s[16:17], v[20:21]
	s_delay_alu instid0(VALU_DEP_4) | instskip(NEXT) | instid1(VALU_DEP_4)
	v_fma_f64 v[22:23], v[60:61], s[16:17], v[22:23]
	v_fma_f64 v[72:73], v[48:49], s[16:17], v[72:73]
	s_delay_alu instid0(VALU_DEP_4) | instskip(NEXT) | instid1(VALU_DEP_4)
	v_fma_f64 v[24:25], v[28:29], s[16:17], v[24:25]
	v_mul_f64 v[62:63], v[20:21], s[24:25]
	v_mul_f64 v[20:21], v[20:21], s[18:19]
	s_delay_alu instid0(VALU_DEP_3)
	v_add_f64 v[109:110], v[24:25], v[56:57]
	v_add_f64 v[24:25], v[24:25], -v[56:57]
	v_fma_f64 v[56:57], v[32:33], s[20:21], v[218:219]
	v_fma_f64 v[62:63], v[22:23], s[12:13], v[62:63]
	;; [unrolled: 1-line block ×4, first 2 shown]
	s_delay_alu instid0(VALU_DEP_4) | instskip(SKIP_1) | instid1(VALU_DEP_4)
	v_fma_f64 v[56:57], v[36:37], s[18:19], v[56:57]
	v_fma_f64 v[36:37], v[36:37], s[22:23], v[122:123]
	v_add_f64 v[107:108], v[72:73], v[22:23]
	s_delay_alu instid0(VALU_DEP_4)
	v_fma_f64 v[20:21], v[32:33], s[12:13], v[20:21]
	v_add_f64 v[22:23], v[72:73], -v[22:23]
	v_add_f64 v[72:73], v[88:89], v[94:95]
	v_add_f64 v[121:122], v[234:235], v[244:245]
	;; [unrolled: 1-line block ×4, first 2 shown]
	v_fma_f64 v[28:29], v[28:29], s[16:17], v[56:57]
	v_fma_f64 v[56:57], v[34:35], s[22:23], v[248:249]
	v_fma_f64 v[32:33], v[32:33], s[18:19], v[36:37]
	v_fma_f64 v[20:21], v[6:7], s[16:17], v[20:21]
	s_delay_alu instid0(VALU_DEP_3) | instskip(SKIP_1) | instid1(VALU_DEP_4)
	v_fma_f64 v[56:57], v[38:39], s[12:13], v[56:57]
	v_fma_f64 v[38:39], v[38:39], s[20:21], v[246:247]
	;; [unrolled: 1-line block ×3, first 2 shown]
	s_delay_alu instid0(VALU_DEP_4)
	v_add_f64 v[105:106], v[20:21], v[62:63]
	v_add_f64 v[20:21], v[20:21], -v[62:63]
	v_add_f64 v[62:63], v[160:161], v[176:177]
	v_fma_f64 v[30:31], v[30:31], s[16:17], v[56:57]
	v_fma_f64 v[56:57], v[40:41], s[20:21], v[132:133]
	;; [unrolled: 1-line block ×3, first 2 shown]
	s_delay_alu instid0(VALU_DEP_2) | instskip(SKIP_1) | instid1(VALU_DEP_3)
	v_fma_f64 v[56:57], v[46:47], s[18:19], v[56:57]
	v_fma_f64 v[46:47], v[46:47], s[22:23], v[128:129]
	v_fma_f64 v[34:35], v[48:49], s[16:17], v[34:35]
	v_fma_f64 v[127:128], v[202:203], s[20:21], v[190:191]
	s_delay_alu instid0(VALU_DEP_4) | instskip(SKIP_2) | instid1(VALU_DEP_4)
	v_fma_f64 v[52:53], v[52:53], s[16:17], v[56:57]
	v_fma_f64 v[56:57], v[42:43], s[22:23], v[134:135]
	;; [unrolled: 1-line block ×4, first 2 shown]
	s_delay_alu instid0(VALU_DEP_3) | instskip(SKIP_1) | instid1(VALU_DEP_4)
	v_fma_f64 v[56:57], v[44:45], s[12:13], v[56:57]
	v_fma_f64 v[44:45], v[44:45], s[20:21], v[130:131]
	;; [unrolled: 1-line block ×4, first 2 shown]
	s_delay_alu instid0(VALU_DEP_4) | instskip(NEXT) | instid1(VALU_DEP_4)
	v_fma_f64 v[54:55], v[54:55], s[16:17], v[56:57]
	v_fma_f64 v[36:37], v[42:43], s[12:13], v[44:45]
	v_mul_f64 v[56:57], v[52:53], s[26:27]
	s_delay_alu instid0(VALU_DEP_4) | instskip(NEXT) | instid1(VALU_DEP_3)
	v_fma_f64 v[129:130], v[232:233], s[12:13], v[129:130]
	v_fma_f64 v[32:33], v[60:61], s[16:17], v[36:37]
	v_mul_f64 v[36:37], v[38:39], s[28:29]
	s_delay_alu instid0(VALU_DEP_4) | instskip(SKIP_2) | instid1(VALU_DEP_4)
	v_fma_f64 v[56:57], v[54:55], s[20:21], v[56:57]
	v_mul_f64 v[54:55], v[54:55], s[26:27]
	v_add_f64 v[60:61], v[154:155], v[172:173]
	v_fma_f64 v[40:41], v[32:33], s[12:13], v[36:37]
	v_mul_f64 v[32:33], v[32:33], s[28:29]
	s_delay_alu instid0(VALU_DEP_4)
	v_fma_f64 v[52:53], v[52:53], s[22:23], v[54:55]
	v_add_f64 v[113:114], v[28:29], v[56:57]
	v_add_f64 v[28:29], v[28:29], -v[56:57]
	v_add_f64 v[56:57], v[76:77], v[82:83]
	v_add_f64 v[36:37], v[6:7], v[40:41]
	v_fma_f64 v[42:43], v[38:39], s[18:19], v[32:33]
	v_add_f64 v[32:33], v[6:7], -v[40:41]
	v_fma_f64 v[40:41], v[162:163], s[20:21], v[150:151]
	v_add_f64 v[6:7], v[80:81], v[92:93]
	v_add_f64 v[80:81], v[158:159], v[174:175]
	;; [unrolled: 1-line block ×3, first 2 shown]
	v_add_f64 v[30:31], v[30:31], -v[52:53]
	v_add_f64 v[92:93], v[228:229], v[124:125]
	v_add_f64 v[38:39], v[34:35], v[42:43]
	v_add_f64 v[34:35], v[34:35], -v[42:43]
	v_fma_f64 v[40:41], v[86:87], s[12:13], v[40:41]
	v_fma_f64 v[42:43], v[166:167], s[22:23], v[156:157]
	s_delay_alu instid0(VALU_DEP_2) | instskip(NEXT) | instid1(VALU_DEP_2)
	v_fma_f64 v[40:41], v[74:75], s[16:17], v[40:41]
	v_fma_f64 v[42:43], v[90:91], s[18:19], v[42:43]
	s_delay_alu instid0(VALU_DEP_2) | instskip(NEXT) | instid1(VALU_DEP_2)
	v_mul_f64 v[44:45], v[40:41], s[24:25]
	v_fma_f64 v[42:43], v[80:81], s[16:17], v[42:43]
	v_mul_f64 v[40:41], v[40:41], s[18:19]
	s_delay_alu instid0(VALU_DEP_2) | instskip(NEXT) | instid1(VALU_DEP_2)
	v_fma_f64 v[48:49], v[42:43], s[12:13], v[44:45]
	v_fma_f64 v[42:43], v[42:43], s[24:25], v[40:41]
	;; [unrolled: 1-line block ×4, first 2 shown]
	s_delay_alu instid0(VALU_DEP_2) | instskip(NEXT) | instid1(VALU_DEP_2)
	v_fma_f64 v[40:41], v[64:65], s[12:13], v[40:41]
	v_fma_f64 v[44:45], v[66:67], s[18:19], v[44:45]
	s_delay_alu instid0(VALU_DEP_2) | instskip(NEXT) | instid1(VALU_DEP_2)
	v_fma_f64 v[40:41], v[6:7], s[16:17], v[40:41]
	v_fma_f64 v[50:51], v[72:73], s[16:17], v[44:45]
	s_delay_alu instid0(VALU_DEP_2) | instskip(SKIP_2) | instid1(VALU_DEP_4)
	v_add_f64 v[44:45], v[40:41], v[48:49]
	v_add_f64 v[40:41], v[40:41], -v[48:49]
	v_fma_f64 v[48:49], v[90:91], s[20:21], v[168:169]
	v_add_f64 v[46:47], v[50:51], v[42:43]
	v_add_f64 v[42:43], v[50:51], -v[42:43]
	v_fma_f64 v[50:51], v[86:87], s[22:23], v[164:165]
	s_delay_alu instid0(VALU_DEP_4) | instskip(NEXT) | instid1(VALU_DEP_2)
	v_fma_f64 v[48:49], v[166:167], s[18:19], v[48:49]
	v_fma_f64 v[50:51], v[162:163], s[12:13], v[50:51]
	s_delay_alu instid0(VALU_DEP_2) | instskip(NEXT) | instid1(VALU_DEP_2)
	v_fma_f64 v[48:49], v[62:63], s[16:17], v[48:49]
	v_fma_f64 v[50:51], v[60:61], s[16:17], v[50:51]
	s_delay_alu instid0(VALU_DEP_2) | instskip(NEXT) | instid1(VALU_DEP_1)
	v_mul_f64 v[52:53], v[48:49], s[20:21]
	v_fma_f64 v[76:77], v[50:51], s[16:17], v[52:53]
	v_mul_f64 v[50:51], v[50:51], s[22:23]
	v_fma_f64 v[52:53], v[66:67], s[20:21], v[144:145]
	s_delay_alu instid0(VALU_DEP_2) | instskip(SKIP_1) | instid1(VALU_DEP_3)
	v_fma_f64 v[50:51], v[48:49], s[16:17], v[50:51]
	v_fma_f64 v[48:49], v[64:65], s[22:23], v[142:143]
	;; [unrolled: 1-line block ×3, first 2 shown]
	s_delay_alu instid0(VALU_DEP_2) | instskip(NEXT) | instid1(VALU_DEP_2)
	v_fma_f64 v[48:49], v[68:69], s[12:13], v[48:49]
	v_fma_f64 v[78:79], v[58:59], s[16:17], v[52:53]
	s_delay_alu instid0(VALU_DEP_2) | instskip(NEXT) | instid1(VALU_DEP_2)
	v_fma_f64 v[48:49], v[56:57], s[16:17], v[48:49]
	v_add_f64 v[54:55], v[78:79], v[50:51]
	v_add_f64 v[50:51], v[78:79], -v[50:51]
	s_delay_alu instid0(VALU_DEP_3) | instskip(SKIP_2) | instid1(VALU_DEP_1)
	v_add_f64 v[52:53], v[48:49], v[76:77]
	v_add_f64 v[48:49], v[48:49], -v[76:77]
	v_fma_f64 v[76:77], v[64:65], s[20:21], v[142:143]
	v_fma_f64 v[76:77], v[68:69], s[18:19], v[76:77]
	;; [unrolled: 1-line block ×3, first 2 shown]
	s_delay_alu instid0(VALU_DEP_2) | instskip(SKIP_1) | instid1(VALU_DEP_3)
	v_fma_f64 v[56:57], v[56:57], s[16:17], v[76:77]
	v_fma_f64 v[76:77], v[66:67], s[22:23], v[144:145]
	;; [unrolled: 1-line block ×3, first 2 shown]
	s_delay_alu instid0(VALU_DEP_2) | instskip(SKIP_1) | instid1(VALU_DEP_3)
	v_fma_f64 v[76:77], v[70:71], s[12:13], v[76:77]
	v_fma_f64 v[70:71], v[70:71], s[20:21], v[140:141]
	;; [unrolled: 1-line block ×3, first 2 shown]
	s_delay_alu instid0(VALU_DEP_3) | instskip(SKIP_1) | instid1(VALU_DEP_4)
	v_fma_f64 v[58:59], v[58:59], s[16:17], v[76:77]
	v_fma_f64 v[76:77], v[86:87], s[20:21], v[164:165]
	;; [unrolled: 1-line block ×3, first 2 shown]
	s_delay_alu instid0(VALU_DEP_2) | instskip(NEXT) | instid1(VALU_DEP_2)
	v_fma_f64 v[76:77], v[162:163], s[18:19], v[76:77]
	v_fma_f64 v[66:67], v[72:73], s[16:17], v[66:67]
	s_delay_alu instid0(VALU_DEP_2) | instskip(SKIP_1) | instid1(VALU_DEP_1)
	v_fma_f64 v[60:61], v[60:61], s[16:17], v[76:77]
	v_fma_f64 v[76:77], v[90:91], s[22:23], v[168:169]
	;; [unrolled: 1-line block ×3, first 2 shown]
	s_delay_alu instid0(VALU_DEP_1) | instskip(NEXT) | instid1(VALU_DEP_4)
	v_fma_f64 v[62:63], v[62:63], s[16:17], v[76:77]
	v_mul_f64 v[76:77], v[60:61], s[26:27]
	s_delay_alu instid0(VALU_DEP_1) | instskip(SKIP_1) | instid1(VALU_DEP_1)
	v_fma_f64 v[76:77], v[62:63], s[20:21], v[76:77]
	v_mul_f64 v[62:63], v[62:63], s[26:27]
	v_fma_f64 v[78:79], v[60:61], s[22:23], v[62:63]
	s_delay_alu instid0(VALU_DEP_3) | instskip(SKIP_2) | instid1(VALU_DEP_4)
	v_add_f64 v[60:61], v[56:57], v[76:77]
	v_add_f64 v[56:57], v[56:57], -v[76:77]
	v_fma_f64 v[76:77], v[162:163], s[22:23], v[150:151]
	v_add_f64 v[62:63], v[58:59], v[78:79]
	v_add_f64 v[58:59], v[58:59], -v[78:79]
	v_fma_f64 v[78:79], v[166:167], s[20:21], v[156:157]
	s_delay_alu instid0(VALU_DEP_4) | instskip(NEXT) | instid1(VALU_DEP_2)
	v_fma_f64 v[76:77], v[86:87], s[18:19], v[76:77]
	v_fma_f64 v[68:69], v[90:91], s[12:13], v[78:79]
	s_delay_alu instid0(VALU_DEP_2) | instskip(SKIP_1) | instid1(VALU_DEP_3)
	v_fma_f64 v[70:71], v[74:75], s[16:17], v[76:77]
	v_add_f64 v[90:91], v[196:197], v[212:213]
	v_fma_f64 v[64:65], v[80:81], s[16:17], v[68:69]
	s_delay_alu instid0(VALU_DEP_3) | instskip(NEXT) | instid1(VALU_DEP_1)
	v_mul_f64 v[68:69], v[70:71], s[28:29]
	v_fma_f64 v[72:73], v[64:65], s[12:13], v[68:69]
	v_mul_f64 v[64:65], v[64:65], s[28:29]
	s_delay_alu instid0(VALU_DEP_2) | instskip(NEXT) | instid1(VALU_DEP_2)
	v_add_f64 v[68:69], v[6:7], v[72:73]
	v_fma_f64 v[74:75], v[70:71], s[18:19], v[64:65]
	v_add_f64 v[64:65], v[6:7], -v[72:73]
	v_fma_f64 v[72:73], v[238:239], s[20:21], v[222:223]
	v_add_f64 v[6:7], v[186:187], v[206:207]
	s_delay_alu instid0(VALU_DEP_4) | instskip(SKIP_1) | instid1(VALU_DEP_4)
	v_add_f64 v[70:71], v[66:67], v[74:75]
	v_add_f64 v[66:67], v[66:67], -v[74:75]
	v_fma_f64 v[72:73], v[224:225], s[12:13], v[72:73]
	v_fma_f64 v[74:75], v[242:243], s[22:23], v[230:231]
	s_delay_alu instid0(VALU_DEP_2) | instskip(NEXT) | instid1(VALU_DEP_2)
	v_fma_f64 v[72:73], v[119:120], s[16:17], v[72:73]
	v_fma_f64 v[74:75], v[232:233], s[18:19], v[74:75]
	s_delay_alu instid0(VALU_DEP_2) | instskip(NEXT) | instid1(VALU_DEP_2)
	v_mul_f64 v[76:77], v[72:73], s[24:25]
	v_fma_f64 v[74:75], v[121:122], s[16:17], v[74:75]
	v_mul_f64 v[72:73], v[72:73], s[18:19]
	s_delay_alu instid0(VALU_DEP_2) | instskip(NEXT) | instid1(VALU_DEP_2)
	v_fma_f64 v[80:81], v[74:75], s[12:13], v[76:77]
	v_fma_f64 v[74:75], v[74:75], s[24:25], v[72:73]
	;; [unrolled: 1-line block ×4, first 2 shown]
	s_delay_alu instid0(VALU_DEP_2) | instskip(NEXT) | instid1(VALU_DEP_2)
	v_fma_f64 v[72:73], v[184:185], s[12:13], v[72:73]
	v_fma_f64 v[76:77], v[192:193], s[18:19], v[76:77]
	s_delay_alu instid0(VALU_DEP_2) | instskip(NEXT) | instid1(VALU_DEP_2)
	v_fma_f64 v[72:73], v[6:7], s[16:17], v[72:73]
	v_fma_f64 v[82:83], v[117:118], s[16:17], v[76:77]
	s_delay_alu instid0(VALU_DEP_2) | instskip(SKIP_2) | instid1(VALU_DEP_4)
	v_add_f64 v[76:77], v[72:73], v[80:81]
	v_add_f64 v[72:73], v[72:73], -v[80:81]
	v_fma_f64 v[80:81], v[232:233], s[20:21], v[250:251]
	v_add_f64 v[78:79], v[82:83], v[74:75]
	v_add_f64 v[74:75], v[82:83], -v[74:75]
	v_fma_f64 v[82:83], v[224:225], s[22:23], v[240:241]
	s_delay_alu instid0(VALU_DEP_4) | instskip(NEXT) | instid1(VALU_DEP_2)
	v_fma_f64 v[80:81], v[242:243], s[18:19], v[80:81]
	v_fma_f64 v[82:83], v[238:239], s[12:13], v[82:83]
	s_delay_alu instid0(VALU_DEP_2) | instskip(NEXT) | instid1(VALU_DEP_2)
	v_fma_f64 v[80:81], v[94:95], s[16:17], v[80:81]
	v_fma_f64 v[82:83], v[92:93], s[16:17], v[82:83]
	s_delay_alu instid0(VALU_DEP_2) | instskip(NEXT) | instid1(VALU_DEP_1)
	v_mul_f64 v[84:85], v[80:81], s[20:21]
	v_fma_f64 v[123:124], v[82:83], s[16:17], v[84:85]
	v_mul_f64 v[82:83], v[82:83], s[22:23]
	v_fma_f64 v[84:85], v[192:193], s[20:21], v[204:205]
	s_delay_alu instid0(VALU_DEP_2) | instskip(SKIP_1) | instid1(VALU_DEP_3)
	v_fma_f64 v[82:83], v[80:81], s[16:17], v[82:83]
	v_fma_f64 v[80:81], v[184:185], s[22:23], v[200:201]
	;; [unrolled: 1-line block ×3, first 2 shown]
	s_delay_alu instid0(VALU_DEP_2) | instskip(NEXT) | instid1(VALU_DEP_2)
	v_fma_f64 v[80:81], v[198:199], s[12:13], v[80:81]
	v_fma_f64 v[125:126], v[90:91], s[16:17], v[84:85]
	s_delay_alu instid0(VALU_DEP_2) | instskip(NEXT) | instid1(VALU_DEP_2)
	v_fma_f64 v[80:81], v[88:89], s[16:17], v[80:81]
	v_add_f64 v[86:87], v[125:126], v[82:83]
	v_add_f64 v[82:83], v[125:126], -v[82:83]
	s_delay_alu instid0(VALU_DEP_3) | instskip(SKIP_2) | instid1(VALU_DEP_1)
	v_add_f64 v[84:85], v[80:81], v[123:124]
	v_add_f64 v[80:81], v[80:81], -v[123:124]
	v_fma_f64 v[123:124], v[184:185], s[20:21], v[200:201]
	v_fma_f64 v[123:124], v[198:199], s[18:19], v[123:124]
	s_delay_alu instid0(VALU_DEP_1) | instskip(SKIP_1) | instid1(VALU_DEP_1)
	v_fma_f64 v[88:89], v[88:89], s[16:17], v[123:124]
	v_fma_f64 v[123:124], v[192:193], s[22:23], v[204:205]
	v_fma_f64 v[123:124], v[202:203], s[12:13], v[123:124]
	s_delay_alu instid0(VALU_DEP_1) | instskip(SKIP_1) | instid1(VALU_DEP_1)
	v_fma_f64 v[90:91], v[90:91], s[16:17], v[123:124]
	;; [unrolled: 4-line block ×3, first 2 shown]
	v_fma_f64 v[123:124], v[232:233], s[22:23], v[250:251]
	v_fma_f64 v[123:124], v[242:243], s[12:13], v[123:124]
	s_delay_alu instid0(VALU_DEP_1) | instskip(NEXT) | instid1(VALU_DEP_4)
	v_fma_f64 v[94:95], v[94:95], s[16:17], v[123:124]
	v_mul_f64 v[123:124], v[92:93], s[26:27]
	s_delay_alu instid0(VALU_DEP_1) | instskip(SKIP_1) | instid1(VALU_DEP_1)
	v_fma_f64 v[123:124], v[94:95], s[20:21], v[123:124]
	v_mul_f64 v[94:95], v[94:95], s[26:27]
	v_fma_f64 v[125:126], v[92:93], s[22:23], v[94:95]
	s_delay_alu instid0(VALU_DEP_3) | instskip(SKIP_2) | instid1(VALU_DEP_4)
	v_add_f64 v[92:93], v[88:89], v[123:124]
	v_add_f64 v[88:89], v[88:89], -v[123:124]
	v_fma_f64 v[123:124], v[238:239], s[22:23], v[222:223]
	v_add_f64 v[94:95], v[90:91], v[125:126]
	v_add_f64 v[90:91], v[90:91], -v[125:126]
	v_fma_f64 v[125:126], v[198:199], s[22:23], v[182:183]
	s_delay_alu instid0(VALU_DEP_4) | instskip(NEXT) | instid1(VALU_DEP_2)
	v_fma_f64 v[123:124], v[224:225], s[18:19], v[123:124]
	v_fma_f64 v[125:126], v[184:185], s[18:19], v[125:126]
	s_delay_alu instid0(VALU_DEP_2) | instskip(SKIP_2) | instid1(VALU_DEP_4)
	v_fma_f64 v[119:120], v[119:120], s[16:17], v[123:124]
	v_fma_f64 v[123:124], v[117:118], s[16:17], v[127:128]
	;; [unrolled: 1-line block ×4, first 2 shown]
	s_delay_alu instid0(VALU_DEP_4) | instskip(NEXT) | instid1(VALU_DEP_1)
	v_mul_f64 v[121:122], v[119:120], s[28:29]
	v_fma_f64 v[121:122], v[117:118], s[12:13], v[121:122]
	v_mul_f64 v[117:118], v[117:118], s[28:29]
	s_delay_alu instid0(VALU_DEP_1) | instskip(NEXT) | instid1(VALU_DEP_3)
	v_fma_f64 v[125:126], v[119:120], s[18:19], v[117:118]
	v_add_f64 v[117:118], v[6:7], v[121:122]
	v_add_f64 v[121:122], v[6:7], -v[121:122]
	v_mul_lo_u16 v6, v5, 10
	s_delay_alu instid0(VALU_DEP_1) | instskip(NEXT) | instid1(VALU_DEP_1)
	v_and_b32_e32 v6, 0xffff, v6
	v_lshlrev_b32_e32 v161, 4, v6
	ds_store_b128 v161, v[100:103]
	ds_store_b128 v161, v[105:108] offset:16
	ds_store_b128 v161, v[109:112] offset:32
	;; [unrolled: 1-line block ×9, first 2 shown]
	v_add_co_u32 v107, null, 0x60, v252
	v_add_co_u32 v106, null, 0xc0, v252
	v_add_co_u32 v105, s30, 0x120, v252
	s_delay_alu instid0(VALU_DEP_3) | instskip(SKIP_1) | instid1(VALU_DEP_4)
	v_mul_u32_u24_e32 v6, 10, v107
	v_and_b32_e32 v110, 0xff, v107
	v_and_b32_e32 v108, 0xffff, v106
	s_delay_alu instid0(VALU_DEP_4) | instskip(NEXT) | instid1(VALU_DEP_4)
	v_and_b32_e32 v109, 0xffff, v105
	v_lshlrev_b32_e32 v163, 4, v6
	v_mul_u32_u24_e32 v6, 10, v106
	ds_store_b128 v163, v[8:11]
	ds_store_b128 v163, v[44:47] offset:16
	ds_store_b128 v163, v[52:55] offset:32
	;; [unrolled: 1-line block ×9, first 2 shown]
	v_lshlrev_b32_e32 v162, 4, v6
	v_add_f64 v[119:120], v[123:124], v[125:126]
	v_add_f64 v[123:124], v[123:124], -v[125:126]
	ds_store_b128 v162, v[0:3]
	ds_store_b128 v162, v[76:79] offset:16
	ds_store_b128 v162, v[84:87] offset:32
	;; [unrolled: 1-line block ×9, first 2 shown]
	v_and_b32_e32 v0, 0xff, v5
	s_waitcnt lgkmcnt(0)
	s_barrier
	buffer_gl0_inv
	ds_load_b128 v[6:9], v4 offset:7680
	ds_load_b128 v[22:25], v4 offset:30720
	v_mul_lo_u16 v0, 0xcd, v0
	s_delay_alu instid0(VALU_DEP_1) | instskip(NEXT) | instid1(VALU_DEP_1)
	v_lshrrev_b16 v113, 11, v0
	v_mul_lo_u16 v0, v113, 10
	v_and_b32_e32 v104, 0xffff, v113
	s_delay_alu instid0(VALU_DEP_2) | instskip(NEXT) | instid1(VALU_DEP_2)
	v_sub_nc_u16 v0, v5, v0
	v_mul_u32_u24_e32 v104, 60, v104
	s_delay_alu instid0(VALU_DEP_2) | instskip(NEXT) | instid1(VALU_DEP_1)
	v_and_b32_e32 v114, 0xff, v0
	v_mad_u64_u32 v[14:15], null, 0x50, v114, s[10:11]
	s_delay_alu instid0(VALU_DEP_3)
	v_add_lshl_u32 v104, v104, v114, 4
	s_clause 0x2
	global_load_b128 v[10:13], v[14:15], off
	global_load_b128 v[16:19], v[14:15], off offset:16
	global_load_b128 v[26:29], v[14:15], off offset:48
	s_waitcnt vmcnt(2) lgkmcnt(1)
	v_mul_f64 v[0:1], v[8:9], v[12:13]
	v_mul_f64 v[2:3], v[6:7], v[12:13]
	scratch_store_b128 off, v[10:13], off offset:540 ; 16-byte Folded Spill
	s_waitcnt vmcnt(1)
	scratch_store_b128 off, v[16:19], off offset:556 ; 16-byte Folded Spill
	s_waitcnt vmcnt(0)
	scratch_store_b128 off, v[26:29], off offset:588 ; 16-byte Folded Spill
	v_fma_f64 v[0:1], v[6:7], v[10:11], -v[0:1]
	v_fma_f64 v[2:3], v[8:9], v[10:11], v[2:3]
	ds_load_b128 v[6:9], v4 offset:15360
	s_waitcnt lgkmcnt(0)
	v_mul_f64 v[10:11], v[8:9], v[18:19]
	s_delay_alu instid0(VALU_DEP_1)
	v_fma_f64 v[100:101], v[6:7], v[16:17], -v[10:11]
	v_mul_f64 v[6:7], v[6:7], v[18:19]
	global_load_b128 v[18:21], v[14:15], off offset:32
	ds_load_b128 v[10:13], v4 offset:23040
	v_fma_f64 v[8:9], v[8:9], v[16:17], v[6:7]
	s_waitcnt vmcnt(0) lgkmcnt(0)
	v_mul_f64 v[6:7], v[12:13], v[20:21]
	scratch_store_b128 off, v[18:21], off offset:572 ; 16-byte Folded Spill
	v_fma_f64 v[16:17], v[10:11], v[18:19], -v[6:7]
	v_mul_f64 v[6:7], v[10:11], v[20:21]
	s_delay_alu instid0(VALU_DEP_1) | instskip(SKIP_1) | instid1(VALU_DEP_1)
	v_fma_f64 v[12:13], v[12:13], v[18:19], v[6:7]
	v_mul_f64 v[6:7], v[24:25], v[28:29]
	v_fma_f64 v[20:21], v[22:23], v[26:27], -v[6:7]
	v_mul_f64 v[6:7], v[22:23], v[28:29]
	global_load_b128 v[28:31], v[14:15], off offset:64
	v_add_f64 v[102:103], v[100:101], v[20:21]
	v_fma_f64 v[22:23], v[24:25], v[26:27], v[6:7]
	ds_load_b128 v[24:27], v4 offset:38400
	s_waitcnt vmcnt(0) lgkmcnt(0)
	v_mul_f64 v[6:7], v[26:27], v[30:31]
	scratch_store_b128 off, v[28:31], off offset:604 ; 16-byte Folded Spill
	v_fma_f64 v[32:33], v[24:25], v[28:29], -v[6:7]
	v_mul_f64 v[6:7], v[24:25], v[30:31]
	s_delay_alu instid0(VALU_DEP_2) | instskip(NEXT) | instid1(VALU_DEP_2)
	v_add_f64 v[113:114], v[16:17], v[32:33]
	v_fma_f64 v[28:29], v[26:27], v[28:29], v[6:7]
	v_mul_lo_u16 v6, 0xcd, v110
	ds_load_b128 v[24:27], v4 offset:9216
	v_lshrrev_b16 v111, 11, v6
	s_delay_alu instid0(VALU_DEP_1) | instskip(NEXT) | instid1(VALU_DEP_1)
	v_mul_lo_u16 v6, v111, 10
	v_sub_nc_u16 v6, v107, v6
	s_delay_alu instid0(VALU_DEP_1) | instskip(NEXT) | instid1(VALU_DEP_1)
	v_and_b32_e32 v112, 0xff, v6
	v_mad_u64_u32 v[38:39], null, 0x50, v112, s[10:11]
	s_clause 0x2
	global_load_b128 v[34:37], v[38:39], off
	global_load_b128 v[40:43], v[38:39], off offset:32
	global_load_b128 v[44:47], v[38:39], off offset:64
	s_waitcnt vmcnt(2) lgkmcnt(0)
	v_mul_f64 v[6:7], v[26:27], v[36:37]
	v_mul_f64 v[10:11], v[24:25], v[36:37]
	scratch_store_b128 off, v[34:37], off offset:620 ; 16-byte Folded Spill
	s_waitcnt vmcnt(1)
	scratch_store_b128 off, v[40:43], off offset:652 ; 16-byte Folded Spill
	s_waitcnt vmcnt(0)
	scratch_store_b128 off, v[44:47], off offset:684 ; 16-byte Folded Spill
	v_fma_f64 v[6:7], v[24:25], v[34:35], -v[6:7]
	v_fma_f64 v[10:11], v[26:27], v[34:35], v[10:11]
	global_load_b128 v[34:37], v[38:39], off offset:16
	ds_load_b128 v[24:27], v4 offset:16896
	s_waitcnt vmcnt(0) lgkmcnt(0)
	v_mul_f64 v[14:15], v[26:27], v[36:37]
	v_mul_f64 v[18:19], v[24:25], v[36:37]
	scratch_store_b128 off, v[34:37], off offset:636 ; 16-byte Folded Spill
	v_fma_f64 v[14:15], v[24:25], v[34:35], -v[14:15]
	v_fma_f64 v[18:19], v[26:27], v[34:35], v[18:19]
	ds_load_b128 v[34:37], v4 offset:24576
	s_waitcnt lgkmcnt(0)
	v_mul_f64 v[24:25], v[36:37], v[42:43]
	s_delay_alu instid0(VALU_DEP_1) | instskip(SKIP_1) | instid1(VALU_DEP_1)
	v_fma_f64 v[26:27], v[34:35], v[40:41], -v[24:25]
	v_mul_f64 v[24:25], v[34:35], v[42:43]
	v_fma_f64 v[24:25], v[36:37], v[40:41], v[24:25]
	global_load_b128 v[40:43], v[38:39], off offset:48
	ds_load_b128 v[34:37], v4 offset:32256
	s_waitcnt vmcnt(0) lgkmcnt(0)
	v_mul_f64 v[30:31], v[36:37], v[42:43]
	scratch_store_b128 off, v[40:43], off offset:668 ; 16-byte Folded Spill
	v_fma_f64 v[30:31], v[34:35], v[40:41], -v[30:31]
	v_mul_f64 v[34:35], v[34:35], v[42:43]
	s_delay_alu instid0(VALU_DEP_2) | instskip(NEXT) | instid1(VALU_DEP_2)
	v_add_f64 v[133:134], v[14:15], v[30:31]
	v_fma_f64 v[34:35], v[36:37], v[40:41], v[34:35]
	ds_load_b128 v[40:43], v4 offset:39936
	s_waitcnt lgkmcnt(0)
	v_mul_f64 v[36:37], v[42:43], v[46:47]
	s_delay_alu instid0(VALU_DEP_1) | instskip(SKIP_2) | instid1(VALU_DEP_1)
	v_fma_f64 v[38:39], v[40:41], v[44:45], -v[36:37]
	v_mul_f64 v[36:37], v[40:41], v[46:47]
	v_mul_u32_u24_e32 v40, 0xcccd, v108
	v_lshrrev_b32_e32 v115, 19, v40
	s_delay_alu instid0(VALU_DEP_1) | instskip(NEXT) | instid1(VALU_DEP_1)
	v_mul_lo_u16 v40, v115, 10
	v_sub_nc_u16 v116, v106, v40
	s_delay_alu instid0(VALU_DEP_1) | instskip(NEXT) | instid1(VALU_DEP_1)
	v_mul_lo_u16 v40, 0x50, v116
	v_and_b32_e32 v40, 0xffff, v40
	s_delay_alu instid0(VALU_DEP_1) | instskip(NEXT) | instid1(VALU_DEP_1)
	v_add_co_u32 v58, s2, s10, v40
	v_add_co_ci_u32_e64 v59, null, s11, 0, s2
	s_clause 0x2
	global_load_b128 v[46:49], v[58:59], off
	global_load_b128 v[50:53], v[58:59], off offset:16
	global_load_b128 v[60:63], v[58:59], off offset:32
	v_fma_f64 v[36:37], v[42:43], v[44:45], v[36:37]
	ds_load_b128 v[42:45], v4 offset:10752
	s_waitcnt vmcnt(2) lgkmcnt(0)
	v_mul_f64 v[40:41], v[44:45], v[48:49]
	scratch_store_b128 off, v[46:49], off offset:700 ; 16-byte Folded Spill
	s_waitcnt vmcnt(1)
	scratch_store_b128 off, v[50:53], off offset:716 ; 16-byte Folded Spill
	s_waitcnt vmcnt(0)
	scratch_store_b128 off, v[60:63], off offset:732 ; 16-byte Folded Spill
	v_fma_f64 v[40:41], v[42:43], v[46:47], -v[40:41]
	v_mul_f64 v[42:43], v[42:43], v[48:49]
	s_delay_alu instid0(VALU_DEP_1) | instskip(SKIP_3) | instid1(VALU_DEP_1)
	v_fma_f64 v[42:43], v[44:45], v[46:47], v[42:43]
	ds_load_b128 v[46:49], v4 offset:18432
	s_waitcnt lgkmcnt(0)
	v_mul_f64 v[44:45], v[48:49], v[52:53]
	v_fma_f64 v[44:45], v[46:47], v[50:51], -v[44:45]
	v_mul_f64 v[46:47], v[46:47], v[52:53]
	ds_load_b128 v[52:55], v4 offset:26112
	v_fma_f64 v[46:47], v[48:49], v[50:51], v[46:47]
	s_waitcnt lgkmcnt(0)
	v_mul_f64 v[48:49], v[54:55], v[62:63]
	s_delay_alu instid0(VALU_DEP_1) | instskip(SKIP_1) | instid1(VALU_DEP_1)
	v_fma_f64 v[50:51], v[52:53], v[60:61], -v[48:49]
	v_mul_f64 v[48:49], v[52:53], v[62:63]
	v_fma_f64 v[48:49], v[54:55], v[60:61], v[48:49]
	global_load_b128 v[60:63], v[58:59], off offset:48
	ds_load_b128 v[54:57], v4 offset:33792
	s_waitcnt vmcnt(0) lgkmcnt(0)
	v_mul_f64 v[52:53], v[56:57], v[62:63]
	scratch_store_b128 off, v[60:63], off offset:748 ; 16-byte Folded Spill
	v_fma_f64 v[52:53], v[54:55], v[60:61], -v[52:53]
	v_mul_f64 v[54:55], v[54:55], v[62:63]
	global_load_b128 v[62:65], v[58:59], off offset:64
	v_add_f64 v[141:142], v[44:45], v[52:53]
	v_fma_f64 v[54:55], v[56:57], v[60:61], v[54:55]
	ds_load_b128 v[56:59], v4 offset:41472
	s_waitcnt vmcnt(0) lgkmcnt(0)
	v_mul_f64 v[60:61], v[58:59], v[64:65]
	s_delay_alu instid0(VALU_DEP_1) | instskip(SKIP_1) | instid1(VALU_DEP_1)
	v_fma_f64 v[60:61], v[56:57], v[62:63], -v[60:61]
	v_mul_f64 v[56:57], v[56:57], v[64:65]
	v_fma_f64 v[56:57], v[58:59], v[62:63], v[56:57]
	v_mul_u32_u24_e32 v58, 0xcccd, v109
	s_delay_alu instid0(VALU_DEP_1) | instskip(NEXT) | instid1(VALU_DEP_1)
	v_lshrrev_b32_e32 v117, 19, v58
	v_mul_lo_u16 v58, v117, 10
	s_delay_alu instid0(VALU_DEP_1) | instskip(NEXT) | instid1(VALU_DEP_1)
	v_sub_nc_u16 v118, v105, v58
	v_mul_lo_u16 v58, 0x50, v118
	s_delay_alu instid0(VALU_DEP_1) | instskip(NEXT) | instid1(VALU_DEP_1)
	v_and_b32_e32 v58, 0xffff, v58
	v_add_co_u32 v78, s2, s10, v58
	s_delay_alu instid0(VALU_DEP_1)
	v_add_co_ci_u32_e64 v79, null, s11, 0, s2
	s_clause 0x3
	global_load_b128 v[66:69], v[78:79], off
	global_load_b128 v[70:73], v[78:79], off offset:16
	global_load_b128 v[80:83], v[78:79], off offset:32
	;; [unrolled: 1-line block ×3, first 2 shown]
	scratch_store_b128 off, v[62:65], off offset:764 ; 16-byte Folded Spill
	ds_load_b128 v[62:65], v4 offset:12288
	s_waitcnt vmcnt(3)
	scratch_store_b128 off, v[66:69], off offset:780 ; 16-byte Folded Spill
	s_waitcnt lgkmcnt(0)
	v_mul_f64 v[58:59], v[64:65], v[68:69]
	s_waitcnt vmcnt(2)
	scratch_store_b128 off, v[70:73], off offset:796 ; 16-byte Folded Spill
	s_waitcnt vmcnt(1)
	scratch_store_b128 off, v[80:83], off offset:812 ; 16-byte Folded Spill
	s_waitcnt vmcnt(0)
	scratch_store_b128 off, v[84:87], off offset:844 ; 16-byte Folded Spill
	v_fma_f64 v[58:59], v[62:63], v[66:67], -v[58:59]
	v_mul_f64 v[62:63], v[62:63], v[68:69]
	s_delay_alu instid0(VALU_DEP_1) | instskip(SKIP_3) | instid1(VALU_DEP_1)
	v_fma_f64 v[62:63], v[64:65], v[66:67], v[62:63]
	ds_load_b128 v[66:69], v4 offset:19968
	s_waitcnt lgkmcnt(0)
	v_mul_f64 v[64:65], v[68:69], v[72:73]
	v_fma_f64 v[64:65], v[66:67], v[70:71], -v[64:65]
	v_mul_f64 v[66:67], v[66:67], v[72:73]
	ds_load_b128 v[72:75], v4 offset:27648
	v_fma_f64 v[66:67], v[68:69], v[70:71], v[66:67]
	s_waitcnt lgkmcnt(0)
	v_mul_f64 v[68:69], v[74:75], v[82:83]
	s_delay_alu instid0(VALU_DEP_1) | instskip(SKIP_1) | instid1(VALU_DEP_1)
	v_fma_f64 v[70:71], v[72:73], v[80:81], -v[68:69]
	v_mul_f64 v[68:69], v[72:73], v[82:83]
	v_fma_f64 v[68:69], v[74:75], v[80:81], v[68:69]
	global_load_b128 v[80:83], v[78:79], off offset:48
	ds_load_b128 v[74:77], v4 offset:35328
	s_waitcnt vmcnt(0) lgkmcnt(0)
	v_mul_f64 v[72:73], v[76:77], v[82:83]
	scratch_store_b128 off, v[80:83], off offset:828 ; 16-byte Folded Spill
	v_fma_f64 v[72:73], v[74:75], v[80:81], -v[72:73]
	v_mul_f64 v[74:75], v[74:75], v[82:83]
	s_delay_alu instid0(VALU_DEP_2) | instskip(NEXT) | instid1(VALU_DEP_2)
	v_add_f64 v[149:150], v[64:65], v[72:73]
	v_fma_f64 v[74:75], v[76:77], v[80:81], v[74:75]
	ds_load_b128 v[80:83], v4 offset:43008
	s_waitcnt lgkmcnt(0)
	v_mul_f64 v[76:77], v[82:83], v[86:87]
	s_delay_alu instid0(VALU_DEP_1) | instskip(SKIP_2) | instid1(VALU_DEP_1)
	v_fma_f64 v[78:79], v[80:81], v[84:85], -v[76:77]
	v_mul_f64 v[76:77], v[80:81], v[86:87]
	v_mul_u32_u24_e32 v80, 0xcccd, v254
	v_lshrrev_b32_e32 v119, 19, v80
	s_delay_alu instid0(VALU_DEP_1) | instskip(NEXT) | instid1(VALU_DEP_1)
	v_mul_lo_u16 v80, v119, 10
	v_sub_nc_u16 v120, v254, v80
	s_delay_alu instid0(VALU_DEP_1) | instskip(NEXT) | instid1(VALU_DEP_1)
	v_mul_lo_u16 v80, 0x50, v120
	v_and_b32_e32 v80, 0xffff, v80
	s_delay_alu instid0(VALU_DEP_1) | instskip(NEXT) | instid1(VALU_DEP_1)
	v_add_co_u32 v98, s2, s10, v80
	v_add_co_ci_u32_e64 v99, null, s11, 0, s2
	s_mov_b32 s2, 0xe8584caa
	s_mov_b32 s3, 0x3febb67a
	;; [unrolled: 1-line block ×3, first 2 shown]
	s_clause 0x2
	global_load_b128 v[86:89], v[98:99], off
	global_load_b128 v[90:93], v[98:99], off offset:16
	global_load_b128 v[121:124], v[98:99], off offset:32
	v_fma_f64 v[76:77], v[82:83], v[84:85], v[76:77]
	ds_load_b128 v[82:85], v4 offset:13824
	global_load_b128 v[125:128], v[98:99], off offset:64
	s_waitcnt vmcnt(3) lgkmcnt(0)
	v_mul_f64 v[80:81], v[84:85], v[88:89]
	scratch_store_b128 off, v[86:89], off offset:860 ; 16-byte Folded Spill
	s_waitcnt vmcnt(2)
	scratch_store_b128 off, v[90:93], off offset:876 ; 16-byte Folded Spill
	s_waitcnt vmcnt(1)
	;; [unrolled: 2-line block ×3, first 2 shown]
	scratch_store_b128 off, v[125:128], off offset:924 ; 16-byte Folded Spill
	v_fma_f64 v[80:81], v[82:83], v[86:87], -v[80:81]
	v_mul_f64 v[82:83], v[82:83], v[88:89]
	s_delay_alu instid0(VALU_DEP_1) | instskip(SKIP_3) | instid1(VALU_DEP_1)
	v_fma_f64 v[82:83], v[84:85], v[86:87], v[82:83]
	ds_load_b128 v[86:89], v4 offset:21504
	s_waitcnt lgkmcnt(0)
	v_mul_f64 v[84:85], v[88:89], v[92:93]
	v_fma_f64 v[84:85], v[86:87], v[90:91], -v[84:85]
	v_mul_f64 v[86:87], v[86:87], v[92:93]
	ds_load_b128 v[92:95], v4 offset:29184
	v_fma_f64 v[86:87], v[88:89], v[90:91], v[86:87]
	s_waitcnt lgkmcnt(0)
	v_mul_f64 v[88:89], v[94:95], v[123:124]
	s_delay_alu instid0(VALU_DEP_1) | instskip(SKIP_1) | instid1(VALU_DEP_1)
	v_fma_f64 v[90:91], v[92:93], v[121:122], -v[88:89]
	v_mul_f64 v[88:89], v[92:93], v[123:124]
	v_fma_f64 v[88:89], v[94:95], v[121:122], v[88:89]
	global_load_b128 v[121:124], v[98:99], off offset:48
	ds_load_b128 v[94:97], v4 offset:36864
	s_waitcnt vmcnt(0) lgkmcnt(0)
	v_mul_f64 v[92:93], v[96:97], v[123:124]
	scratch_store_b128 off, v[121:124], off offset:908 ; 16-byte Folded Spill
	v_fma_f64 v[92:93], v[94:95], v[121:122], -v[92:93]
	v_mul_f64 v[94:95], v[94:95], v[123:124]
	s_delay_alu instid0(VALU_DEP_2) | instskip(NEXT) | instid1(VALU_DEP_2)
	v_add_f64 v[157:158], v[84:85], v[92:93]
	v_fma_f64 v[94:95], v[96:97], v[121:122], v[94:95]
	ds_load_b128 v[121:124], v4 offset:44544
	s_waitcnt lgkmcnt(0)
	v_mul_f64 v[96:97], v[123:124], v[127:128]
	s_delay_alu instid0(VALU_DEP_1) | instskip(SKIP_1) | instid1(VALU_DEP_1)
	v_fma_f64 v[98:99], v[121:122], v[125:126], -v[96:97]
	v_mul_f64 v[96:97], v[121:122], v[127:128]
	v_fma_f64 v[96:97], v[123:124], v[125:126], v[96:97]
	ds_load_b128 v[121:124], v4
	v_add_f64 v[125:126], v[8:9], v[22:23]
	s_waitcnt lgkmcnt(0)
	v_fma_f64 v[102:103], v[102:103], -0.5, v[121:122]
	v_add_f64 v[121:122], v[121:122], v[100:101]
	v_add_f64 v[100:101], v[100:101], -v[20:21]
	s_delay_alu instid0(VALU_DEP_4)
	v_fma_f64 v[164:165], v[125:126], -0.5, v[123:124]
	v_add_f64 v[123:124], v[123:124], v[8:9]
	v_add_f64 v[8:9], v[8:9], -v[22:23]
	v_add_f64 v[125:126], v[121:122], v[20:21]
	v_add_f64 v[121:122], v[0:1], v[16:17]
	v_add_f64 v[16:17], v[16:17], -v[32:33]
	v_add_f64 v[127:128], v[123:124], v[22:23]
	s_delay_alu instid0(VALU_DEP_3) | instskip(SKIP_3) | instid1(VALU_DEP_3)
	v_add_f64 v[129:130], v[121:122], v[32:33]
	v_add_f64 v[121:122], v[2:3], v[12:13]
	;; [unrolled: 1-line block ×3, first 2 shown]
	v_add_f64 v[12:13], v[12:13], -v[28:29]
	v_add_f64 v[131:132], v[121:122], v[28:29]
	v_add_f64 v[121:122], v[125:126], v[129:130]
	v_add_f64 v[125:126], v[125:126], -v[129:130]
	v_fma_f64 v[32:33], v[32:33], -0.5, v[2:3]
	v_fma_f64 v[28:29], v[113:114], -0.5, v[0:1]
	v_fma_f64 v[113:114], v[8:9], s[2:3], v[102:103]
	v_fma_f64 v[8:9], v[8:9], s[8:9], v[102:103]
	v_add_f64 v[123:124], v[127:128], v[131:132]
	v_add_f64 v[127:128], v[127:128], -v[131:132]
	ds_load_b128 v[129:132], v4 offset:1536
	v_fma_f64 v[0:1], v[16:17], s[8:9], v[32:33]
	v_fma_f64 v[2:3], v[12:13], s[2:3], v[28:29]
	;; [unrolled: 1-line block ×5, first 2 shown]
	s_waitcnt lgkmcnt(0)
	v_fma_f64 v[166:167], v[133:134], -0.5, v[129:130]
	v_add_f64 v[133:134], v[18:19], v[34:35]
	v_add_f64 v[129:130], v[129:130], v[14:15]
	v_add_f64 v[14:15], v[14:15], -v[30:31]
	v_mul_f64 v[20:21], v[0:1], s[2:3]
	v_mul_f64 v[32:33], v[12:13], -0.5
	v_fma_f64 v[168:169], v[133:134], -0.5, v[131:132]
	v_add_f64 v[133:134], v[129:130], v[30:31]
	v_add_f64 v[129:130], v[6:7], v[26:27]
	;; [unrolled: 1-line block ×3, first 2 shown]
	v_add_f64 v[18:19], v[18:19], -v[34:35]
	v_fma_f64 v[20:21], v[2:3], 0.5, v[20:21]
	v_mul_f64 v[2:3], v[2:3], s[8:9]
	v_fma_f64 v[32:33], v[16:17], s[2:3], v[32:33]
	v_mul_f64 v[16:17], v[16:17], -0.5
	v_add_f64 v[137:138], v[129:130], v[38:39]
	v_add_f64 v[129:130], v[10:11], v[24:25]
	;; [unrolled: 1-line block ×3, first 2 shown]
	v_fma_f64 v[30:31], v[18:19], s[2:3], v[166:167]
	v_fma_f64 v[18:19], v[18:19], s[8:9], v[166:167]
	v_fma_f64 v[22:23], v[0:1], 0.5, v[2:3]
	v_add_f64 v[0:1], v[113:114], v[20:21]
	v_fma_f64 v[12:13], v[12:13], s[8:9], v[16:17]
	v_add_f64 v[16:17], v[26:27], -v[38:39]
	v_add_f64 v[20:21], v[113:114], -v[20:21]
	v_add_f64 v[139:140], v[129:130], v[36:37]
	v_add_f64 v[129:130], v[133:134], v[137:138]
	v_add_f64 v[133:134], v[133:134], -v[137:138]
	s_delay_alu instid0(VALU_DEP_3)
	v_add_f64 v[131:132], v[135:136], v[139:140]
	v_add_f64 v[135:136], v[135:136], -v[139:140]
	ds_load_b128 v[137:140], v4 offset:3072
	s_waitcnt lgkmcnt(0)
	v_fma_f64 v[170:171], v[141:142], -0.5, v[137:138]
	v_add_f64 v[141:142], v[46:47], v[54:55]
	v_add_f64 v[137:138], v[137:138], v[44:45]
	v_add_f64 v[44:45], v[44:45], -v[52:53]
	s_delay_alu instid0(VALU_DEP_3) | instskip(NEXT) | instid1(VALU_DEP_3)
	v_fma_f64 v[172:173], v[141:142], -0.5, v[139:140]
	v_add_f64 v[141:142], v[137:138], v[52:53]
	v_add_f64 v[137:138], v[40:41], v[50:51]
	;; [unrolled: 1-line block ×3, first 2 shown]
	v_add_f64 v[52:53], v[70:71], -v[78:79]
	s_delay_alu instid0(VALU_DEP_3) | instskip(SKIP_1) | instid1(VALU_DEP_4)
	v_add_f64 v[145:146], v[137:138], v[60:61]
	v_add_f64 v[137:138], v[42:43], v[48:49]
	;; [unrolled: 1-line block ×3, first 2 shown]
	s_delay_alu instid0(VALU_DEP_2) | instskip(NEXT) | instid1(VALU_DEP_4)
	v_add_f64 v[147:148], v[137:138], v[56:57]
	v_add_f64 v[137:138], v[141:142], v[145:146]
	v_add_f64 v[141:142], v[141:142], -v[145:146]
	s_delay_alu instid0(VALU_DEP_3)
	v_add_f64 v[139:140], v[143:144], v[147:148]
	v_add_f64 v[143:144], v[143:144], -v[147:148]
	ds_load_b128 v[145:148], v4 offset:4608
	s_waitcnt lgkmcnt(0)
	v_fma_f64 v[174:175], v[149:150], -0.5, v[145:146]
	v_add_f64 v[149:150], v[66:67], v[74:75]
	v_add_f64 v[145:146], v[145:146], v[64:65]
	s_delay_alu instid0(VALU_DEP_2) | instskip(NEXT) | instid1(VALU_DEP_2)
	v_fma_f64 v[176:177], v[149:150], -0.5, v[147:148]
	v_add_f64 v[149:150], v[145:146], v[72:73]
	v_add_f64 v[145:146], v[58:59], v[70:71]
	;; [unrolled: 1-line block ×3, first 2 shown]
	s_delay_alu instid0(VALU_DEP_2) | instskip(SKIP_1) | instid1(VALU_DEP_3)
	v_add_f64 v[153:154], v[145:146], v[78:79]
	v_add_f64 v[145:146], v[62:63], v[68:69]
	;; [unrolled: 1-line block ×3, first 2 shown]
	s_delay_alu instid0(VALU_DEP_2) | instskip(NEXT) | instid1(VALU_DEP_4)
	v_add_f64 v[155:156], v[145:146], v[76:77]
	v_add_f64 v[145:146], v[149:150], v[153:154]
	v_add_f64 v[149:150], v[149:150], -v[153:154]
	s_delay_alu instid0(VALU_DEP_3)
	v_add_f64 v[147:148], v[151:152], v[155:156]
	v_add_f64 v[151:152], v[151:152], -v[155:156]
	ds_load_b128 v[153:156], v4 offset:6144
	s_waitcnt lgkmcnt(0)
	s_waitcnt_vscnt null, 0x0
	s_barrier
	buffer_gl0_inv
	ds_store_b128 v104, v[121:124]
	ds_store_b128 v104, v[125:128] offset:480
	v_fma_f64 v[121:122], v[100:101], s[8:9], v[164:165]
	v_add_f64 v[123:124], v[28:29], v[12:13]
	v_add_f64 v[125:126], v[8:9], -v[32:33]
	v_add_f64 v[127:128], v[28:29], -v[12:13]
	v_add_f64 v[12:13], v[24:25], v[36:37]
	v_add_f64 v[24:25], v[24:25], -v[36:37]
	v_add_f64 v[36:37], v[50:51], -v[60:61]
	scratch_store_b32 off, v104, off offset:1184 ; 4-byte Folded Spill
	v_fma_f64 v[178:179], v[157:158], -0.5, v[153:154]
	v_add_f64 v[157:158], v[86:87], v[94:95]
	v_add_f64 v[153:154], v[153:154], v[84:85]
	;; [unrolled: 1-line block ×3, first 2 shown]
	v_add_f64 v[22:23], v[121:122], -v[22:23]
	v_add_f64 v[121:122], v[8:9], v[32:33]
	v_add_f64 v[8:9], v[26:27], v[38:39]
	v_fma_f64 v[26:27], v[12:13], -0.5, v[10:11]
	v_fma_f64 v[32:33], v[14:15], s[8:9], v[168:169]
	ds_store_b128 v104, v[0:3] offset:160
	ds_store_b128 v104, v[121:124] offset:320
	ds_store_b128 v104, v[20:23] offset:640
	ds_store_b128 v104, v[125:128] offset:800
	v_fma_f64 v[180:181], v[157:158], -0.5, v[155:156]
	v_fma_f64 v[28:29], v[8:9], -0.5, v[6:7]
	v_fma_f64 v[6:7], v[16:17], s[8:9], v[26:27]
	v_add_f64 v[157:158], v[153:154], v[92:93]
	v_add_f64 v[153:154], v[80:81], v[90:91]
	;; [unrolled: 1-line block ×3, first 2 shown]
	v_and_b32_e32 v0, 0xffff, v111
	s_delay_alu instid0(VALU_DEP_1) | instskip(NEXT) | instid1(VALU_DEP_1)
	v_mul_u32_u24_e32 v0, 60, v0
	v_add_lshl_u32 v0, v0, v112, 4
	scratch_store_b32 off, v0, off offset:1112 ; 4-byte Folded Spill
	v_fma_f64 v[8:9], v[24:25], s[2:3], v[28:29]
	v_fma_f64 v[24:25], v[24:25], s[8:9], v[28:29]
	v_mul_f64 v[10:11], v[6:7], s[2:3]
	v_fma_f64 v[28:29], v[14:15], s[2:3], v[168:169]
	v_fma_f64 v[14:15], v[16:17], s[2:3], v[26:27]
	v_add_f64 v[182:183], v[153:154], v[98:99]
	v_add_f64 v[153:154], v[82:83], v[88:89]
	;; [unrolled: 1-line block ×3, first 2 shown]
	v_mul_f64 v[16:17], v[24:25], -0.5
	v_fma_f64 v[10:11], v[8:9], 0.5, v[10:11]
	v_mul_f64 v[8:9], v[8:9], s[8:9]
	v_add_f64 v[184:185], v[153:154], v[96:97]
	v_add_f64 v[153:154], v[157:158], v[182:183]
	v_add_f64 v[157:158], v[157:158], -v[182:183]
	v_fma_f64 v[26:27], v[14:15], s[2:3], v[16:17]
	v_mul_f64 v[14:15], v[14:15], -0.5
	v_fma_f64 v[12:13], v[6:7], 0.5, v[8:9]
	v_add_f64 v[6:7], v[30:31], v[10:11]
	v_add_f64 v[10:11], v[30:31], -v[10:11]
	v_add_f64 v[155:156], v[159:160], v[184:185]
	v_add_f64 v[159:160], v[159:160], -v[184:185]
	v_fma_f64 v[30:31], v[24:25], s[8:9], v[14:15]
	v_add_f64 v[14:15], v[18:19], v[26:27]
	v_add_f64 v[24:25], v[18:19], -v[26:27]
	v_add_f64 v[18:19], v[50:51], v[60:61]
	v_add_f64 v[8:9], v[32:33], v[12:13]
	v_add_f64 v[12:13], v[32:33], -v[12:13]
	v_add_f64 v[60:61], v[64:65], -v[72:73]
	;; [unrolled: 1-line block ×3, first 2 shown]
	v_add_f64 v[16:17], v[28:29], v[30:31]
	v_add_f64 v[26:27], v[28:29], -v[30:31]
	v_add_f64 v[28:29], v[48:49], v[56:57]
	v_fma_f64 v[18:19], v[18:19], -0.5, v[40:41]
	ds_store_b128 v0, v[129:132]
	ds_store_b128 v0, v[6:9] offset:160
	ds_store_b128 v0, v[14:17] offset:320
	;; [unrolled: 1-line block ×5, first 2 shown]
	v_fma_f64 v[64:65], v[60:61], s[8:9], v[176:177]
	v_mad_u16 v0, v115, 60, v116
	v_fma_f64 v[38:39], v[28:29], -0.5, v[42:43]
	v_add_f64 v[42:43], v[46:47], -v[54:55]
	v_add_f64 v[46:47], v[48:49], -v[56:57]
	v_fma_f64 v[48:49], v[44:45], s[8:9], v[172:173]
	v_add_f64 v[56:57], v[66:67], -v[74:75]
	v_add_f64 v[74:75], v[84:85], -v[92:93]
	v_and_b32_e32 v0, 0xffff, v0
	s_delay_alu instid0(VALU_DEP_1)
	v_lshlrev_b32_e32 v0, 4, v0
	scratch_store_b32 off, v0, off offset:1028 ; 4-byte Folded Spill
	v_fma_f64 v[28:29], v[36:37], s[8:9], v[38:39]
	v_fma_f64 v[40:41], v[42:43], s[2:3], v[170:171]
	;; [unrolled: 1-line block ×5, first 2 shown]
	v_mul_f64 v[32:33], v[28:29], s[2:3]
	s_delay_alu instid0(VALU_DEP_3) | instskip(NEXT) | instid1(VALU_DEP_2)
	v_mul_f64 v[38:39], v[18:19], -0.5
	v_fma_f64 v[32:33], v[30:31], 0.5, v[32:33]
	v_mul_f64 v[30:31], v[30:31], s[8:9]
	s_delay_alu instid0(VALU_DEP_1) | instskip(NEXT) | instid1(VALU_DEP_3)
	v_fma_f64 v[34:35], v[28:29], 0.5, v[30:31]
	v_add_f64 v[28:29], v[40:41], v[32:33]
	v_add_f64 v[32:33], v[40:41], -v[32:33]
	v_fma_f64 v[40:41], v[42:43], s[8:9], v[170:171]
	v_fma_f64 v[42:43], v[44:45], s[2:3], v[172:173]
	;; [unrolled: 1-line block ×3, first 2 shown]
	v_mul_f64 v[36:37], v[36:37], -0.5
	v_add_f64 v[30:31], v[48:49], v[34:35]
	v_add_f64 v[34:35], v[48:49], -v[34:35]
	s_delay_alu instid0(VALU_DEP_3) | instskip(SKIP_3) | instid1(VALU_DEP_4)
	v_fma_f64 v[18:19], v[18:19], s[8:9], v[36:37]
	v_add_f64 v[36:37], v[40:41], v[44:45]
	v_add_f64 v[40:41], v[40:41], -v[44:45]
	v_add_f64 v[44:45], v[68:69], v[76:77]
	v_add_f64 v[38:39], v[42:43], v[18:19]
	v_add_f64 v[42:43], v[42:43], -v[18:19]
	v_add_f64 v[18:19], v[70:71], v[78:79]
	s_delay_alu instid0(VALU_DEP_4)
	v_fma_f64 v[54:55], v[44:45], -0.5, v[62:63]
	v_add_f64 v[62:63], v[68:69], -v[76:77]
	v_add_f64 v[68:69], v[90:91], -v[98:99]
	;; [unrolled: 1-line block ×3, first 2 shown]
	v_fma_f64 v[78:79], v[72:73], s[2:3], v[178:179]
	v_fma_f64 v[72:73], v[72:73], s[8:9], v[178:179]
	ds_store_b128 v0, v[137:140]
	ds_store_b128 v0, v[28:31] offset:160
	ds_store_b128 v0, v[36:39] offset:320
	ds_store_b128 v0, v[141:144] offset:480
	ds_store_b128 v0, v[32:35] offset:640
	ds_store_b128 v0, v[40:43] offset:800
	v_mad_u16 v0, v117, 60, v118
	v_fma_f64 v[18:19], v[18:19], -0.5, v[58:59]
	v_fma_f64 v[44:45], v[52:53], s[8:9], v[54:55]
	v_fma_f64 v[58:59], v[56:57], s[2:3], v[174:175]
	;; [unrolled: 1-line block ×4, first 2 shown]
	v_and_b32_e32 v0, 0xffff, v0
	s_delay_alu instid0(VALU_DEP_1) | instskip(SKIP_4) | instid1(VALU_DEP_2)
	v_lshlrev_b32_e32 v0, 4, v0
	scratch_store_b32 off, v0, off offset:1008 ; 4-byte Folded Spill
	v_fma_f64 v[46:47], v[62:63], s[2:3], v[18:19]
	v_mul_f64 v[48:49], v[44:45], s[2:3]
	v_fma_f64 v[18:19], v[62:63], s[8:9], v[18:19]
	v_fma_f64 v[48:49], v[46:47], 0.5, v[48:49]
	v_mul_f64 v[46:47], v[46:47], s[8:9]
	s_delay_alu instid0(VALU_DEP_3) | instskip(NEXT) | instid1(VALU_DEP_2)
	v_mul_f64 v[54:55], v[18:19], -0.5
	v_fma_f64 v[50:51], v[44:45], 0.5, v[46:47]
	s_delay_alu instid0(VALU_DEP_4)
	v_add_f64 v[44:45], v[58:59], v[48:49]
	v_add_f64 v[48:49], v[58:59], -v[48:49]
	v_fma_f64 v[58:59], v[60:61], s[2:3], v[176:177]
	v_fma_f64 v[60:61], v[52:53], s[2:3], v[54:55]
	v_mul_f64 v[52:53], v[52:53], -0.5
	v_add_f64 v[46:47], v[64:65], v[50:51]
	v_add_f64 v[50:51], v[64:65], -v[50:51]
	s_delay_alu instid0(VALU_DEP_3) | instskip(SKIP_3) | instid1(VALU_DEP_4)
	v_fma_f64 v[18:19], v[18:19], s[8:9], v[52:53]
	v_add_f64 v[52:53], v[56:57], v[60:61]
	v_add_f64 v[56:57], v[56:57], -v[60:61]
	v_add_f64 v[60:61], v[88:89], v[96:97]
	v_add_f64 v[54:55], v[58:59], v[18:19]
	v_add_f64 v[58:59], v[58:59], -v[18:19]
	v_add_f64 v[18:19], v[90:91], v[98:99]
	s_delay_alu instid0(VALU_DEP_4)
	v_fma_f64 v[70:71], v[60:61], -0.5, v[82:83]
	ds_store_b128 v0, v[145:148]
	ds_store_b128 v0, v[44:47] offset:160
	ds_store_b128 v0, v[52:55] offset:320
	ds_store_b128 v0, v[149:152] offset:480
	ds_store_b128 v0, v[48:51] offset:640
	ds_store_b128 v0, v[56:59] offset:800
	v_mad_u16 v0, v119, 60, v120
	v_fma_f64 v[18:19], v[18:19], -0.5, v[80:81]
	v_fma_f64 v[60:61], v[68:69], s[8:9], v[70:71]
	v_fma_f64 v[68:69], v[68:69], s[2:3], v[70:71]
	;; [unrolled: 1-line block ×4, first 2 shown]
	v_and_b32_e32 v0, 0xffff, v0
	s_delay_alu instid0(VALU_DEP_1) | instskip(SKIP_4) | instid1(VALU_DEP_2)
	v_lshlrev_b32_e32 v0, 4, v0
	scratch_store_b32 off, v0, off offset:940 ; 4-byte Folded Spill
	v_fma_f64 v[62:63], v[76:77], s[2:3], v[18:19]
	v_fma_f64 v[18:19], v[76:77], s[8:9], v[18:19]
	v_mul_f64 v[64:65], v[60:61], s[2:3]
	v_mul_f64 v[70:71], v[18:19], -0.5
	s_delay_alu instid0(VALU_DEP_2) | instskip(SKIP_1) | instid1(VALU_DEP_3)
	v_fma_f64 v[64:65], v[62:63], 0.5, v[64:65]
	v_mul_f64 v[62:63], v[62:63], s[8:9]
	v_fma_f64 v[76:77], v[68:69], s[2:3], v[70:71]
	v_mul_f64 v[68:69], v[68:69], -0.5
	s_delay_alu instid0(VALU_DEP_3) | instskip(SKIP_2) | instid1(VALU_DEP_4)
	v_fma_f64 v[66:67], v[60:61], 0.5, v[62:63]
	v_add_f64 v[60:61], v[78:79], v[64:65]
	v_add_f64 v[64:65], v[78:79], -v[64:65]
	v_fma_f64 v[18:19], v[18:19], s[8:9], v[68:69]
	s_delay_alu instid0(VALU_DEP_4)
	v_add_f64 v[62:63], v[80:81], v[66:67]
	v_add_f64 v[68:69], v[72:73], v[76:77]
	v_add_f64 v[66:67], v[80:81], -v[66:67]
	v_add_f64 v[72:73], v[72:73], -v[76:77]
	v_add_f64 v[70:71], v[74:75], v[18:19]
	v_add_f64 v[74:75], v[74:75], -v[18:19]
	ds_store_b128 v0, v[153:156]
	ds_store_b128 v0, v[60:63] offset:160
	ds_store_b128 v0, v[68:71] offset:320
	;; [unrolled: 1-line block ×5, first 2 shown]
	v_subrev_nc_u32_e32 v0, 60, v252
	s_waitcnt lgkmcnt(0)
	s_waitcnt_vscnt null, 0x0
	s_barrier
	buffer_gl0_inv
	ds_load_b128 v[6:9], v4 offset:7680
	v_cndmask_b32_e32 v111, v0, v252, vcc_lo
	scratch_store_b32 off, v254, off offset:504 ; 4-byte Folded Spill
	v_mul_i32_i24_e32 v0, 0x50, v111
	v_mul_hi_i32_i24_e32 v1, 0x50, v111
	s_delay_alu instid0(VALU_DEP_2) | instskip(NEXT) | instid1(VALU_DEP_2)
	v_add_co_u32 v18, vcc_lo, s10, v0
	v_add_co_ci_u32_e32 v19, vcc_lo, s11, v1, vcc_lo
	v_cmp_lt_u16_e32 vcc_lo, 59, v5
	s_clause 0x1
	global_load_b128 v[10:13], v[18:19], off offset:800
	global_load_b128 v[20:23], v[18:19], off offset:832
	v_cndmask_b32_e64 v104, 0, 0x168, vcc_lo
	s_delay_alu instid0(VALU_DEP_1)
	v_add_lshl_u32 v104, v111, v104, 4
	s_waitcnt vmcnt(1)
	scratch_store_b128 off, v[10:13], off offset:944 ; 16-byte Folded Spill
	s_waitcnt lgkmcnt(0)
	v_mul_f64 v[0:1], v[8:9], v[12:13]
	v_mul_f64 v[2:3], v[6:7], v[12:13]
	global_load_b128 v[12:15], v[18:19], off offset:816
	s_waitcnt vmcnt(1)
	scratch_store_b128 off, v[20:23], off offset:976 ; 16-byte Folded Spill
	v_fma_f64 v[0:1], v[6:7], v[10:11], -v[0:1]
	v_fma_f64 v[2:3], v[8:9], v[10:11], v[2:3]
	ds_load_b128 v[6:9], v4 offset:15360
	s_waitcnt vmcnt(0) lgkmcnt(0)
	v_mul_f64 v[10:11], v[8:9], v[14:15]
	scratch_store_b128 off, v[12:15], off offset:960 ; 16-byte Folded Spill
	v_fma_f64 v[100:101], v[6:7], v[12:13], -v[10:11]
	v_mul_f64 v[6:7], v[6:7], v[14:15]
	s_delay_alu instid0(VALU_DEP_1) | instskip(SKIP_3) | instid1(VALU_DEP_1)
	v_fma_f64 v[6:7], v[8:9], v[12:13], v[6:7]
	ds_load_b128 v[12:15], v4 offset:23040
	s_waitcnt lgkmcnt(0)
	v_mul_f64 v[8:9], v[14:15], v[22:23]
	v_fma_f64 v[10:11], v[12:13], v[20:21], -v[8:9]
	v_mul_f64 v[8:9], v[12:13], v[22:23]
	s_delay_alu instid0(VALU_DEP_1)
	v_fma_f64 v[8:9], v[14:15], v[20:21], v[8:9]
	global_load_b128 v[20:23], v[18:19], off offset:848
	ds_load_b128 v[14:17], v4 offset:30720
	s_waitcnt vmcnt(0) lgkmcnt(0)
	v_mul_f64 v[12:13], v[16:17], v[22:23]
	scratch_store_b128 off, v[20:23], off offset:992 ; 16-byte Folded Spill
	v_fma_f64 v[12:13], v[14:15], v[20:21], -v[12:13]
	v_mul_f64 v[14:15], v[14:15], v[22:23]
	global_load_b128 v[22:25], v[18:19], off offset:864
	v_add_f64 v[102:103], v[100:101], v[12:13]
	v_fma_f64 v[14:15], v[16:17], v[20:21], v[14:15]
	ds_load_b128 v[16:19], v4 offset:38400
	s_waitcnt vmcnt(0) lgkmcnt(0)
	v_mul_f64 v[20:21], v[18:19], v[24:25]
	s_delay_alu instid0(VALU_DEP_1) | instskip(SKIP_1) | instid1(VALU_DEP_1)
	v_fma_f64 v[20:21], v[16:17], v[22:23], -v[20:21]
	v_mul_f64 v[16:17], v[16:17], v[24:25]
	v_fma_f64 v[18:19], v[18:19], v[22:23], v[16:17]
	v_mul_lo_u16 v16, 0x89, v110
	s_delay_alu instid0(VALU_DEP_1) | instskip(NEXT) | instid1(VALU_DEP_1)
	v_lshrrev_b16 v110, 13, v16
	v_mul_lo_u16 v16, v110, 60
	s_delay_alu instid0(VALU_DEP_1) | instskip(NEXT) | instid1(VALU_DEP_1)
	v_sub_nc_u16 v16, v107, v16
	v_and_b32_e32 v107, 0xff, v16
	s_delay_alu instid0(VALU_DEP_1)
	v_mad_u64_u32 v[38:39], null, 0x50, v107, s[10:11]
	s_clause 0x3
	global_load_b128 v[26:29], v[38:39], off offset:800
	global_load_b128 v[30:33], v[38:39], off offset:816
	;; [unrolled: 1-line block ×4, first 2 shown]
	scratch_store_b128 off, v[22:25], off offset:1012 ; 16-byte Folded Spill
	ds_load_b128 v[22:25], v4 offset:9216
	s_waitcnt vmcnt(3)
	scratch_store_b128 off, v[26:29], off offset:1032 ; 16-byte Folded Spill
	s_waitcnt lgkmcnt(0)
	v_mul_f64 v[16:17], v[24:25], v[28:29]
	s_waitcnt vmcnt(2)
	scratch_store_b128 off, v[30:33], off offset:1048 ; 16-byte Folded Spill
	s_waitcnt vmcnt(1)
	scratch_store_b128 off, v[40:43], off offset:1064 ; 16-byte Folded Spill
	;; [unrolled: 2-line block ×3, first 2 shown]
	v_fma_f64 v[16:17], v[22:23], v[26:27], -v[16:17]
	v_mul_f64 v[22:23], v[22:23], v[28:29]
	s_delay_alu instid0(VALU_DEP_1) | instskip(SKIP_3) | instid1(VALU_DEP_1)
	v_fma_f64 v[22:23], v[24:25], v[26:27], v[22:23]
	ds_load_b128 v[26:29], v4 offset:16896
	s_waitcnt lgkmcnt(0)
	v_mul_f64 v[24:25], v[28:29], v[32:33]
	v_fma_f64 v[24:25], v[26:27], v[30:31], -v[24:25]
	v_mul_f64 v[26:27], v[26:27], v[32:33]
	ds_load_b128 v[32:35], v4 offset:24576
	v_fma_f64 v[26:27], v[28:29], v[30:31], v[26:27]
	s_waitcnt lgkmcnt(0)
	v_mul_f64 v[28:29], v[34:35], v[42:43]
	s_delay_alu instid0(VALU_DEP_1) | instskip(SKIP_1) | instid1(VALU_DEP_1)
	v_fma_f64 v[30:31], v[32:33], v[40:41], -v[28:29]
	v_mul_f64 v[28:29], v[32:33], v[42:43]
	v_fma_f64 v[28:29], v[34:35], v[40:41], v[28:29]
	global_load_b128 v[40:43], v[38:39], off offset:848
	ds_load_b128 v[34:37], v4 offset:32256
	s_waitcnt vmcnt(0) lgkmcnt(0)
	v_mul_f64 v[32:33], v[36:37], v[42:43]
	scratch_store_b128 off, v[40:43], off offset:1080 ; 16-byte Folded Spill
	v_fma_f64 v[32:33], v[34:35], v[40:41], -v[32:33]
	v_mul_f64 v[34:35], v[34:35], v[42:43]
	s_delay_alu instid0(VALU_DEP_2) | instskip(NEXT) | instid1(VALU_DEP_2)
	v_add_f64 v[127:128], v[24:25], v[32:33]
	v_fma_f64 v[34:35], v[36:37], v[40:41], v[34:35]
	ds_load_b128 v[40:43], v4 offset:39936
	s_waitcnt lgkmcnt(0)
	v_mul_f64 v[36:37], v[42:43], v[46:47]
	s_delay_alu instid0(VALU_DEP_1) | instskip(SKIP_2) | instid1(VALU_DEP_1)
	v_fma_f64 v[38:39], v[40:41], v[44:45], -v[36:37]
	v_mul_f64 v[36:37], v[40:41], v[46:47]
	v_mul_u32_u24_e32 v40, 0x8889, v108
	v_lshrrev_b32_e32 v108, 21, v40
	s_delay_alu instid0(VALU_DEP_1) | instskip(NEXT) | instid1(VALU_DEP_1)
	v_mul_lo_u16 v40, v108, 60
	v_sub_nc_u16 v106, v106, v40
	s_delay_alu instid0(VALU_DEP_1) | instskip(NEXT) | instid1(VALU_DEP_1)
	v_mul_lo_u16 v40, 0x50, v106
	v_and_b32_e32 v40, 0xffff, v40
	s_delay_alu instid0(VALU_DEP_1) | instskip(NEXT) | instid1(VALU_DEP_1)
	v_add_co_u32 v58, s31, s10, v40
	v_add_co_ci_u32_e64 v59, null, s11, 0, s31
	s_clause 0x2
	global_load_b128 v[46:49], v[58:59], off offset:800
	global_load_b128 v[50:53], v[58:59], off offset:816
	;; [unrolled: 1-line block ×3, first 2 shown]
	v_fma_f64 v[36:37], v[42:43], v[44:45], v[36:37]
	ds_load_b128 v[42:45], v4 offset:10752
	s_waitcnt vmcnt(2) lgkmcnt(0)
	v_mul_f64 v[40:41], v[44:45], v[48:49]
	scratch_store_b128 off, v[46:49], off offset:1120 ; 16-byte Folded Spill
	s_waitcnt vmcnt(1)
	scratch_store_b128 off, v[50:53], off offset:1136 ; 16-byte Folded Spill
	s_waitcnt vmcnt(0)
	scratch_store_b128 off, v[60:63], off offset:1152 ; 16-byte Folded Spill
	v_fma_f64 v[40:41], v[42:43], v[46:47], -v[40:41]
	v_mul_f64 v[42:43], v[42:43], v[48:49]
	s_delay_alu instid0(VALU_DEP_1) | instskip(SKIP_3) | instid1(VALU_DEP_1)
	v_fma_f64 v[42:43], v[44:45], v[46:47], v[42:43]
	ds_load_b128 v[46:49], v4 offset:18432
	s_waitcnt lgkmcnt(0)
	v_mul_f64 v[44:45], v[48:49], v[52:53]
	v_fma_f64 v[44:45], v[46:47], v[50:51], -v[44:45]
	v_mul_f64 v[46:47], v[46:47], v[52:53]
	ds_load_b128 v[52:55], v4 offset:26112
	v_fma_f64 v[46:47], v[48:49], v[50:51], v[46:47]
	s_waitcnt lgkmcnt(0)
	v_mul_f64 v[48:49], v[54:55], v[62:63]
	s_delay_alu instid0(VALU_DEP_1) | instskip(SKIP_1) | instid1(VALU_DEP_1)
	v_fma_f64 v[50:51], v[52:53], v[60:61], -v[48:49]
	v_mul_f64 v[48:49], v[52:53], v[62:63]
	v_fma_f64 v[48:49], v[54:55], v[60:61], v[48:49]
	global_load_b128 v[60:63], v[58:59], off offset:848
	ds_load_b128 v[54:57], v4 offset:33792
	s_waitcnt vmcnt(0) lgkmcnt(0)
	v_mul_f64 v[52:53], v[56:57], v[62:63]
	scratch_store_b128 off, v[60:63], off offset:1168 ; 16-byte Folded Spill
	v_fma_f64 v[52:53], v[54:55], v[60:61], -v[52:53]
	v_mul_f64 v[54:55], v[54:55], v[62:63]
	global_load_b128 v[62:65], v[58:59], off offset:864
	v_add_f64 v[135:136], v[44:45], v[52:53]
	v_fma_f64 v[54:55], v[56:57], v[60:61], v[54:55]
	ds_load_b128 v[56:59], v4 offset:41472
	s_waitcnt vmcnt(0) lgkmcnt(0)
	v_mul_f64 v[60:61], v[58:59], v[64:65]
	s_delay_alu instid0(VALU_DEP_1) | instskip(SKIP_1) | instid1(VALU_DEP_1)
	v_fma_f64 v[60:61], v[56:57], v[62:63], -v[60:61]
	v_mul_f64 v[56:57], v[56:57], v[64:65]
	v_fma_f64 v[56:57], v[58:59], v[62:63], v[56:57]
	v_mul_u32_u24_e32 v58, 0x8889, v109
	s_delay_alu instid0(VALU_DEP_1) | instskip(NEXT) | instid1(VALU_DEP_1)
	v_lshrrev_b32_e32 v109, 21, v58
	v_mul_lo_u16 v58, v109, 60
	s_delay_alu instid0(VALU_DEP_1) | instskip(NEXT) | instid1(VALU_DEP_1)
	v_sub_nc_u16 v112, v105, v58
	v_mul_lo_u16 v58, 0x50, v112
	s_delay_alu instid0(VALU_DEP_1) | instskip(NEXT) | instid1(VALU_DEP_1)
	v_and_b32_e32 v58, 0xffff, v58
	v_add_co_u32 v78, s31, s10, v58
	s_delay_alu instid0(VALU_DEP_1)
	v_add_co_ci_u32_e64 v79, null, s11, 0, s31
	s_clause 0x3
	global_load_b128 v[66:69], v[78:79], off offset:800
	global_load_b128 v[70:73], v[78:79], off offset:816
	;; [unrolled: 1-line block ×4, first 2 shown]
	scratch_store_b128 off, v[62:65], off offset:1188 ; 16-byte Folded Spill
	ds_load_b128 v[62:65], v4 offset:12288
	s_waitcnt vmcnt(3)
	scratch_store_b128 off, v[66:69], off offset:1204 ; 16-byte Folded Spill
	s_waitcnt lgkmcnt(0)
	v_mul_f64 v[58:59], v[64:65], v[68:69]
	s_waitcnt vmcnt(2)
	scratch_store_b128 off, v[70:73], off offset:1220 ; 16-byte Folded Spill
	s_waitcnt vmcnt(1)
	scratch_store_b128 off, v[80:83], off offset:1236 ; 16-byte Folded Spill
	;; [unrolled: 2-line block ×3, first 2 shown]
	v_fma_f64 v[58:59], v[62:63], v[66:67], -v[58:59]
	v_mul_f64 v[62:63], v[62:63], v[68:69]
	s_delay_alu instid0(VALU_DEP_1) | instskip(SKIP_3) | instid1(VALU_DEP_1)
	v_fma_f64 v[62:63], v[64:65], v[66:67], v[62:63]
	ds_load_b128 v[66:69], v4 offset:19968
	s_waitcnt lgkmcnt(0)
	v_mul_f64 v[64:65], v[68:69], v[72:73]
	v_fma_f64 v[64:65], v[66:67], v[70:71], -v[64:65]
	v_mul_f64 v[66:67], v[66:67], v[72:73]
	ds_load_b128 v[72:75], v4 offset:27648
	v_fma_f64 v[66:67], v[68:69], v[70:71], v[66:67]
	s_waitcnt lgkmcnt(0)
	v_mul_f64 v[68:69], v[74:75], v[82:83]
	s_delay_alu instid0(VALU_DEP_1) | instskip(SKIP_1) | instid1(VALU_DEP_1)
	v_fma_f64 v[70:71], v[72:73], v[80:81], -v[68:69]
	v_mul_f64 v[68:69], v[72:73], v[82:83]
	v_fma_f64 v[68:69], v[74:75], v[80:81], v[68:69]
	global_load_b128 v[80:83], v[78:79], off offset:848
	ds_load_b128 v[74:77], v4 offset:35328
	s_waitcnt vmcnt(0) lgkmcnt(0)
	v_mul_f64 v[72:73], v[76:77], v[82:83]
	scratch_store_b128 off, v[80:83], off offset:1252 ; 16-byte Folded Spill
	v_fma_f64 v[72:73], v[74:75], v[80:81], -v[72:73]
	v_mul_f64 v[74:75], v[74:75], v[82:83]
	s_delay_alu instid0(VALU_DEP_2) | instskip(NEXT) | instid1(VALU_DEP_2)
	v_add_f64 v[143:144], v[64:65], v[72:73]
	v_fma_f64 v[74:75], v[76:77], v[80:81], v[74:75]
	ds_load_b128 v[80:83], v4 offset:43008
	s_waitcnt lgkmcnt(0)
	v_mul_f64 v[76:77], v[82:83], v[86:87]
	s_delay_alu instid0(VALU_DEP_1) | instskip(SKIP_2) | instid1(VALU_DEP_1)
	v_fma_f64 v[78:79], v[80:81], v[84:85], -v[76:77]
	v_mul_f64 v[76:77], v[80:81], v[86:87]
	v_mul_u32_u24_e32 v80, 0x8889, v254
	v_lshrrev_b32_e32 v113, 21, v80
	s_delay_alu instid0(VALU_DEP_1) | instskip(NEXT) | instid1(VALU_DEP_1)
	v_mul_lo_u16 v80, v113, 60
	v_sub_nc_u16 v114, v254, v80
	s_delay_alu instid0(VALU_DEP_1) | instskip(NEXT) | instid1(VALU_DEP_1)
	v_mul_lo_u16 v80, 0x50, v114
	v_and_b32_e32 v80, 0xffff, v80
	s_delay_alu instid0(VALU_DEP_1) | instskip(NEXT) | instid1(VALU_DEP_1)
	v_add_co_u32 v98, s31, s10, v80
	v_add_co_ci_u32_e64 v99, null, s11, 0, s31
	s_clause 0x2
	global_load_b128 v[86:89], v[98:99], off offset:800
	global_load_b128 v[90:93], v[98:99], off offset:816
	;; [unrolled: 1-line block ×3, first 2 shown]
	v_fma_f64 v[76:77], v[82:83], v[84:85], v[76:77]
	ds_load_b128 v[82:85], v4 offset:13824
	global_load_b128 v[119:122], v[98:99], off offset:864
	s_waitcnt vmcnt(3) lgkmcnt(0)
	v_mul_f64 v[80:81], v[84:85], v[88:89]
	scratch_store_b128 off, v[86:89], off offset:1284 ; 16-byte Folded Spill
	s_waitcnt vmcnt(2)
	scratch_store_b128 off, v[90:93], off offset:1300 ; 16-byte Folded Spill
	s_waitcnt vmcnt(1)
	;; [unrolled: 2-line block ×3, first 2 shown]
	scratch_store_b128 off, v[119:122], off offset:1352 ; 16-byte Folded Spill
	v_fma_f64 v[80:81], v[82:83], v[86:87], -v[80:81]
	v_mul_f64 v[82:83], v[82:83], v[88:89]
	s_delay_alu instid0(VALU_DEP_1) | instskip(SKIP_3) | instid1(VALU_DEP_1)
	v_fma_f64 v[82:83], v[84:85], v[86:87], v[82:83]
	ds_load_b128 v[86:89], v4 offset:21504
	s_waitcnt lgkmcnt(0)
	v_mul_f64 v[84:85], v[88:89], v[92:93]
	v_fma_f64 v[84:85], v[86:87], v[90:91], -v[84:85]
	v_mul_f64 v[86:87], v[86:87], v[92:93]
	ds_load_b128 v[92:95], v4 offset:29184
	v_fma_f64 v[86:87], v[88:89], v[90:91], v[86:87]
	s_waitcnt lgkmcnt(0)
	v_mul_f64 v[88:89], v[94:95], v[117:118]
	s_delay_alu instid0(VALU_DEP_1) | instskip(SKIP_1) | instid1(VALU_DEP_1)
	v_fma_f64 v[90:91], v[92:93], v[115:116], -v[88:89]
	v_mul_f64 v[88:89], v[92:93], v[117:118]
	v_fma_f64 v[88:89], v[94:95], v[115:116], v[88:89]
	global_load_b128 v[115:118], v[98:99], off offset:848
	ds_load_b128 v[94:97], v4 offset:36864
	s_waitcnt vmcnt(0) lgkmcnt(0)
	v_mul_f64 v[92:93], v[96:97], v[117:118]
	scratch_store_b128 off, v[115:118], off offset:1332 ; 16-byte Folded Spill
	v_fma_f64 v[92:93], v[94:95], v[115:116], -v[92:93]
	v_mul_f64 v[94:95], v[94:95], v[117:118]
	s_delay_alu instid0(VALU_DEP_2) | instskip(NEXT) | instid1(VALU_DEP_2)
	v_add_f64 v[151:152], v[84:85], v[92:93]
	v_fma_f64 v[94:95], v[96:97], v[115:116], v[94:95]
	ds_load_b128 v[115:118], v4 offset:44544
	s_waitcnt lgkmcnt(0)
	v_mul_f64 v[96:97], v[117:118], v[121:122]
	s_delay_alu instid0(VALU_DEP_1) | instskip(SKIP_1) | instid1(VALU_DEP_1)
	v_fma_f64 v[98:99], v[115:116], v[119:120], -v[96:97]
	v_mul_f64 v[96:97], v[115:116], v[121:122]
	v_fma_f64 v[96:97], v[117:118], v[119:120], v[96:97]
	ds_load_b128 v[115:118], v4
	v_add_f64 v[119:120], v[6:7], v[14:15]
	s_waitcnt lgkmcnt(0)
	v_fma_f64 v[102:103], v[102:103], -0.5, v[115:116]
	v_add_f64 v[115:116], v[115:116], v[100:101]
	s_delay_alu instid0(VALU_DEP_3) | instskip(SKIP_1) | instid1(VALU_DEP_3)
	v_fma_f64 v[159:160], v[119:120], -0.5, v[117:118]
	v_add_f64 v[117:118], v[117:118], v[6:7]
	v_add_f64 v[119:120], v[115:116], v[12:13]
	v_add_f64 v[115:116], v[0:1], v[10:11]
	v_add_f64 v[12:13], v[100:101], -v[12:13]
	s_delay_alu instid0(VALU_DEP_4) | instskip(SKIP_1) | instid1(VALU_DEP_4)
	v_add_f64 v[121:122], v[117:118], v[14:15]
	v_add_f64 v[14:15], v[6:7], -v[14:15]
	v_add_f64 v[123:124], v[115:116], v[20:21]
	v_add_f64 v[115:116], v[2:3], v[8:9]
	s_delay_alu instid0(VALU_DEP_1) | instskip(NEXT) | instid1(VALU_DEP_3)
	v_add_f64 v[125:126], v[115:116], v[18:19]
	v_add_f64 v[115:116], v[119:120], v[123:124]
	v_add_f64 v[119:120], v[119:120], -v[123:124]
	s_delay_alu instid0(VALU_DEP_3)
	v_add_f64 v[117:118], v[121:122], v[125:126]
	v_add_f64 v[121:122], v[121:122], -v[125:126]
	ds_load_b128 v[123:126], v4 offset:1536
	s_waitcnt lgkmcnt(0)
	v_fma_f64 v[164:165], v[127:128], -0.5, v[123:124]
	v_add_f64 v[127:128], v[26:27], v[34:35]
	v_add_f64 v[123:124], v[123:124], v[24:25]
	s_delay_alu instid0(VALU_DEP_2) | instskip(NEXT) | instid1(VALU_DEP_2)
	v_fma_f64 v[166:167], v[127:128], -0.5, v[125:126]
	v_add_f64 v[127:128], v[123:124], v[32:33]
	v_add_f64 v[123:124], v[16:17], v[30:31]
	;; [unrolled: 1-line block ×3, first 2 shown]
	v_add_f64 v[26:27], v[26:27], -v[34:35]
	v_add_f64 v[32:33], v[24:25], -v[32:33]
	s_delay_alu instid0(VALU_DEP_4) | instskip(SKIP_2) | instid1(VALU_DEP_2)
	v_add_f64 v[131:132], v[123:124], v[38:39]
	v_add_f64 v[123:124], v[22:23], v[28:29]
	;; [unrolled: 1-line block ×4, first 2 shown]
	s_delay_alu instid0(VALU_DEP_4) | instskip(SKIP_1) | instid1(VALU_DEP_3)
	v_add_f64 v[123:124], v[127:128], v[131:132]
	v_add_f64 v[127:128], v[127:128], -v[131:132]
	v_add_f64 v[125:126], v[129:130], v[133:134]
	v_add_f64 v[129:130], v[129:130], -v[133:134]
	ds_load_b128 v[131:134], v4 offset:3072
	s_waitcnt lgkmcnt(0)
	v_fma_f64 v[168:169], v[135:136], -0.5, v[131:132]
	v_add_f64 v[135:136], v[46:47], v[54:55]
	v_add_f64 v[131:132], v[131:132], v[44:45]
	v_add_f64 v[44:45], v[44:45], -v[52:53]
	s_delay_alu instid0(VALU_DEP_3) | instskip(SKIP_4) | instid1(VALU_DEP_4)
	v_fma_f64 v[170:171], v[135:136], -0.5, v[133:134]
	v_add_f64 v[135:136], v[40:41], v[50:51]
	v_add_f64 v[133:134], v[133:134], v[46:47]
	;; [unrolled: 1-line block ×3, first 2 shown]
	v_add_f64 v[46:47], v[46:47], -v[54:55]
	v_add_f64 v[139:140], v[135:136], v[60:61]
	v_add_f64 v[135:136], v[42:43], v[48:49]
	;; [unrolled: 1-line block ×3, first 2 shown]
	s_delay_alu instid0(VALU_DEP_4) | instskip(SKIP_1) | instid1(VALU_DEP_4)
	v_fma_f64 v[54:55], v[46:47], s[2:3], v[168:169]
	v_fma_f64 v[46:47], v[46:47], s[8:9], v[168:169]
	v_add_f64 v[141:142], v[135:136], v[56:57]
	v_add_f64 v[135:136], v[131:132], v[139:140]
	v_add_f64 v[139:140], v[131:132], -v[139:140]
	s_delay_alu instid0(VALU_DEP_3)
	v_add_f64 v[137:138], v[133:134], v[141:142]
	v_add_f64 v[141:142], v[133:134], -v[141:142]
	ds_load_b128 v[131:134], v4 offset:4608
	s_waitcnt lgkmcnt(0)
	v_fma_f64 v[172:173], v[143:144], -0.5, v[131:132]
	v_add_f64 v[143:144], v[66:67], v[74:75]
	v_add_f64 v[131:132], v[131:132], v[64:65]
	v_add_f64 v[64:65], v[64:65], -v[72:73]
	s_delay_alu instid0(VALU_DEP_3)
	v_fma_f64 v[174:175], v[143:144], -0.5, v[133:134]
	v_add_f64 v[143:144], v[58:59], v[70:71]
	v_add_f64 v[133:134], v[133:134], v[66:67]
	v_add_f64 v[131:132], v[131:132], v[72:73]
	v_add_f64 v[66:67], v[66:67], -v[74:75]
	v_fma_f64 v[72:73], v[64:65], s[8:9], v[174:175]
	v_add_f64 v[147:148], v[143:144], v[78:79]
	v_add_f64 v[143:144], v[62:63], v[68:69]
	;; [unrolled: 1-line block ×3, first 2 shown]
	v_fma_f64 v[64:65], v[64:65], s[2:3], v[174:175]
	v_add_f64 v[74:75], v[90:91], -v[98:99]
	s_delay_alu instid0(VALU_DEP_4) | instskip(SKIP_2) | instid1(VALU_DEP_3)
	v_add_f64 v[149:150], v[143:144], v[76:77]
	v_add_f64 v[143:144], v[131:132], v[147:148]
	v_add_f64 v[147:148], v[131:132], -v[147:148]
	v_add_f64 v[145:146], v[133:134], v[149:150]
	v_add_f64 v[149:150], v[133:134], -v[149:150]
	ds_load_b128 v[131:134], v4 offset:6144
	s_waitcnt lgkmcnt(0)
	s_waitcnt_vscnt null, 0x0
	s_barrier
	buffer_gl0_inv
	ds_store_b128 v104, v[115:118]
	ds_store_b128 v104, v[119:122] offset:2880
	v_add_f64 v[115:116], v[10:11], v[20:21]
	v_add_f64 v[10:11], v[10:11], -v[20:21]
	v_add_f64 v[20:21], v[8:9], v[18:19]
	v_add_f64 v[18:19], v[8:9], -v[18:19]
	v_fma_f64 v[117:118], v[12:13], s[8:9], v[159:160]
	scratch_store_b32 off, v104, off offset:1500 ; 4-byte Folded Spill
	v_fma_f64 v[176:177], v[151:152], -0.5, v[131:132]
	v_add_f64 v[151:152], v[86:87], v[94:95]
	v_add_f64 v[131:132], v[131:132], v[84:85]
	v_fma_f64 v[100:101], v[115:116], -0.5, v[0:1]
	v_fma_f64 v[115:116], v[14:15], s[2:3], v[102:103]
	v_fma_f64 v[20:21], v[20:21], -0.5, v[2:3]
	v_fma_f64 v[14:15], v[14:15], s[8:9], v[102:103]
	v_fma_f64 v[178:179], v[151:152], -0.5, v[133:134]
	v_add_f64 v[151:152], v[80:81], v[90:91]
	v_add_f64 v[133:134], v[133:134], v[86:87]
	;; [unrolled: 1-line block ×3, first 2 shown]
	v_fma_f64 v[2:3], v[18:19], s[2:3], v[100:101]
	v_fma_f64 v[18:19], v[18:19], s[8:9], v[100:101]
	;; [unrolled: 1-line block ×5, first 2 shown]
	v_add_f64 v[155:156], v[151:152], v[98:99]
	v_add_f64 v[151:152], v[82:83], v[88:89]
	;; [unrolled: 1-line block ×3, first 2 shown]
	v_mul_f64 v[12:13], v[18:19], -0.5
	v_mul_f64 v[6:7], v[0:1], s[2:3]
	s_delay_alu instid0(VALU_DEP_4)
	v_add_f64 v[157:158], v[151:152], v[96:97]
	v_add_f64 v[151:152], v[131:132], v[155:156]
	v_add_f64 v[155:156], v[131:132], -v[155:156]
	v_fma_f64 v[20:21], v[10:11], s[2:3], v[12:13]
	v_mul_f64 v[10:11], v[10:11], -0.5
	v_fma_f64 v[6:7], v[2:3], 0.5, v[6:7]
	v_mul_f64 v[2:3], v[2:3], s[8:9]
	v_add_f64 v[153:154], v[133:134], v[157:158]
	v_add_f64 v[157:158], v[133:134], -v[157:158]
	v_fma_f64 v[102:103], v[18:19], s[8:9], v[10:11]
	v_add_f64 v[10:11], v[14:15], v[20:21]
	v_add_f64 v[18:19], v[14:15], -v[20:21]
	v_add_f64 v[14:15], v[30:31], v[38:39]
	v_add_f64 v[30:31], v[30:31], -v[38:39]
	v_add_f64 v[38:39], v[28:29], v[36:37]
	v_add_f64 v[28:29], v[28:29], -v[36:37]
	v_fma_f64 v[36:37], v[26:27], s[2:3], v[164:165]
	v_fma_f64 v[8:9], v[0:1], 0.5, v[2:3]
	v_add_f64 v[0:1], v[115:116], v[6:7]
	v_add_f64 v[6:7], v[115:116], -v[6:7]
	v_add_f64 v[12:13], v[100:101], v[102:103]
	v_add_f64 v[20:21], v[100:101], -v[102:103]
	v_fma_f64 v[100:101], v[32:33], s[8:9], v[166:167]
	v_fma_f64 v[34:35], v[14:15], -0.5, v[16:17]
	v_fma_f64 v[32:33], v[32:33], s[2:3], v[166:167]
	v_fma_f64 v[38:39], v[38:39], -0.5, v[22:23]
	v_add_f64 v[2:3], v[117:118], v[8:9]
	v_add_f64 v[8:9], v[117:118], -v[8:9]
	ds_store_b128 v104, v[0:3] offset:960
	ds_store_b128 v104, v[10:13] offset:1920
	;; [unrolled: 1-line block ×4, first 2 shown]
	v_fma_f64 v[14:15], v[30:31], s[8:9], v[38:39]
	v_fma_f64 v[16:17], v[28:29], s[2:3], v[34:35]
	;; [unrolled: 1-line block ×5, first 2 shown]
	v_and_b32_e32 v0, 0xffff, v110
	v_add_co_u32 v6, s31, s10, v4
	s_delay_alu instid0(VALU_DEP_1) | instskip(NEXT) | instid1(VALU_DEP_3)
	v_add_co_ci_u32_e64 v7, null, s11, 0, s31
	v_mul_u32_u24_e32 v0, 0x168, v0
	s_delay_alu instid0(VALU_DEP_3) | instskip(NEXT) | instid1(VALU_DEP_3)
	v_add_co_u32 v12, vcc_lo, 0x1000, v6
	v_add_co_ci_u32_e32 v13, vcc_lo, 0, v7, vcc_lo
	s_delay_alu instid0(VALU_DEP_3) | instskip(SKIP_1) | instid1(VALU_DEP_1)
	v_add_lshl_u32 v159, v0, v107, 4
	v_mad_u16 v0, 0x168, v108, v106
	v_and_b32_e32 v0, 0xffff, v0
	s_delay_alu instid0(VALU_DEP_1) | instskip(SKIP_1) | instid1(VALU_DEP_1)
	v_lshlrev_b32_e32 v160, 4, v0
	v_mad_u16 v0, 0x168, v109, v112
	v_and_b32_e32 v0, 0xffff, v0
	s_delay_alu instid0(VALU_DEP_1) | instskip(SKIP_2) | instid1(VALU_DEP_2)
	v_lshlrev_b32_e32 v0, 4, v0
	v_mul_f64 v[22:23], v[14:15], s[2:3]
	v_mul_f64 v[30:31], v[28:29], -0.5
	v_fma_f64 v[22:23], v[16:17], 0.5, v[22:23]
	v_mul_f64 v[16:17], v[16:17], s[8:9]
	s_delay_alu instid0(VALU_DEP_3) | instskip(SKIP_1) | instid1(VALU_DEP_3)
	v_fma_f64 v[30:31], v[26:27], s[2:3], v[30:31]
	v_mul_f64 v[26:27], v[26:27], -0.5
	v_fma_f64 v[24:25], v[14:15], 0.5, v[16:17]
	v_add_f64 v[14:15], v[36:37], v[22:23]
	v_add_f64 v[22:23], v[36:37], -v[22:23]
	s_delay_alu instid0(VALU_DEP_4)
	v_fma_f64 v[36:37], v[28:29], s[8:9], v[26:27]
	v_add_f64 v[26:27], v[34:35], v[30:31]
	v_add_f64 v[30:31], v[34:35], -v[30:31]
	v_add_f64 v[34:35], v[50:51], v[60:61]
	v_add_f64 v[50:51], v[50:51], -v[60:61]
	v_add_f64 v[60:61], v[70:71], -v[78:79]
	v_add_f64 v[16:17], v[100:101], v[24:25]
	v_add_f64 v[24:25], v[100:101], -v[24:25]
	v_add_f64 v[28:29], v[32:33], v[36:37]
	;; [unrolled: 2-line block ×3, first 2 shown]
	v_add_f64 v[48:49], v[48:49], -v[56:57]
	v_fma_f64 v[52:53], v[34:35], -0.5, v[40:41]
	v_fma_f64 v[56:57], v[44:45], s[8:9], v[170:171]
	ds_store_b128 v159, v[123:126]
	ds_store_b128 v159, v[14:17] offset:960
	ds_store_b128 v159, v[26:29] offset:1920
	;; [unrolled: 1-line block ×5, first 2 shown]
	v_fma_f64 v[42:43], v[36:37], -0.5, v[42:43]
	v_fma_f64 v[36:37], v[48:49], s[2:3], v[52:53]
	v_fma_f64 v[48:49], v[48:49], s[8:9], v[52:53]
	;; [unrolled: 1-line block ×3, first 2 shown]
	s_delay_alu instid0(VALU_DEP_4) | instskip(SKIP_1) | instid1(VALU_DEP_4)
	v_fma_f64 v[34:35], v[50:51], s[8:9], v[42:43]
	v_fma_f64 v[42:43], v[50:51], s[2:3], v[42:43]
	v_mul_f64 v[44:45], v[48:49], -0.5
	s_delay_alu instid0(VALU_DEP_3) | instskip(NEXT) | instid1(VALU_DEP_2)
	v_mul_f64 v[38:39], v[34:35], s[2:3]
	v_fma_f64 v[50:51], v[42:43], s[2:3], v[44:45]
	v_mul_f64 v[42:43], v[42:43], -0.5
	s_delay_alu instid0(VALU_DEP_3) | instskip(SKIP_1) | instid1(VALU_DEP_3)
	v_fma_f64 v[38:39], v[36:37], 0.5, v[38:39]
	v_mul_f64 v[36:37], v[36:37], s[8:9]
	v_fma_f64 v[48:49], v[48:49], s[8:9], v[42:43]
	v_add_f64 v[42:43], v[46:47], v[50:51]
	v_add_f64 v[46:47], v[46:47], -v[50:51]
	v_add_f64 v[50:51], v[70:71], v[78:79]
	v_fma_f64 v[70:71], v[66:67], s[2:3], v[172:173]
	v_fma_f64 v[66:67], v[66:67], s[8:9], v[172:173]
	v_add_f64 v[78:79], v[86:87], -v[94:95]
	v_fma_f64 v[40:41], v[34:35], 0.5, v[36:37]
	v_add_f64 v[34:35], v[54:55], v[38:39]
	v_add_f64 v[38:39], v[54:55], -v[38:39]
	v_add_f64 v[44:45], v[52:53], v[48:49]
	v_add_f64 v[48:49], v[52:53], -v[48:49]
	;; [unrolled: 2-line block ×3, first 2 shown]
	v_fma_f64 v[58:59], v[50:51], -0.5, v[58:59]
	v_fma_f64 v[86:87], v[78:79], s[2:3], v[176:177]
	v_fma_f64 v[78:79], v[78:79], s[8:9], v[176:177]
	v_add_f64 v[36:37], v[56:57], v[40:41]
	v_add_f64 v[40:41], v[56:57], -v[40:41]
	ds_store_b128 v160, v[135:138]
	ds_store_b128 v160, v[34:37] offset:960
	ds_store_b128 v160, v[42:45] offset:1920
	;; [unrolled: 1-line block ×5, first 2 shown]
	v_fma_f64 v[62:63], v[52:53], -0.5, v[62:63]
	v_fma_f64 v[52:53], v[68:69], s[2:3], v[58:59]
	v_fma_f64 v[58:59], v[68:69], s[8:9], v[58:59]
	scratch_store_b32 off, v0, off offset:1368 ; 4-byte Folded Spill
	v_fma_f64 v[50:51], v[60:61], s[8:9], v[62:63]
	v_fma_f64 v[60:61], v[60:61], s[2:3], v[62:63]
	v_mul_f64 v[62:63], v[58:59], -0.5
	s_delay_alu instid0(VALU_DEP_3) | instskip(NEXT) | instid1(VALU_DEP_2)
	v_mul_f64 v[54:55], v[50:51], s[2:3]
	v_fma_f64 v[62:63], v[60:61], s[2:3], v[62:63]
	v_mul_f64 v[60:61], v[60:61], -0.5
	s_delay_alu instid0(VALU_DEP_3) | instskip(SKIP_1) | instid1(VALU_DEP_3)
	v_fma_f64 v[54:55], v[52:53], 0.5, v[54:55]
	v_mul_f64 v[52:53], v[52:53], s[8:9]
	v_fma_f64 v[68:69], v[58:59], s[8:9], v[60:61]
	v_add_f64 v[58:59], v[66:67], v[62:63]
	v_add_f64 v[62:63], v[66:67], -v[62:63]
	v_add_f64 v[66:67], v[90:91], v[98:99]
	v_fma_f64 v[56:57], v[50:51], 0.5, v[52:53]
	v_add_f64 v[50:51], v[70:71], v[54:55]
	v_add_f64 v[60:61], v[64:65], v[68:69]
	v_add_f64 v[64:65], v[64:65], -v[68:69]
	v_add_f64 v[68:69], v[88:89], v[96:97]
	v_fma_f64 v[80:81], v[66:67], -0.5, v[80:81]
	v_add_f64 v[54:55], v[70:71], -v[54:55]
	v_add_f64 v[52:53], v[72:73], v[56:57]
	v_add_f64 v[56:57], v[72:73], -v[56:57]
	ds_store_b128 v0, v[143:146]
	ds_store_b128 v0, v[50:53] offset:960
	ds_store_b128 v0, v[58:61] offset:1920
	;; [unrolled: 1-line block ×5, first 2 shown]
	v_fma_f64 v[76:77], v[68:69], -0.5, v[82:83]
	v_add_f64 v[82:83], v[84:85], -v[92:93]
	v_add_f64 v[84:85], v[88:89], -v[96:97]
	v_mad_u16 v0, 0x168, v113, v114
	s_delay_alu instid0(VALU_DEP_1) | instskip(NEXT) | instid1(VALU_DEP_1)
	v_and_b32_e32 v0, 0xffff, v0
	v_lshlrev_b32_e32 v0, 4, v0
	scratch_store_b32 off, v0, off offset:1348 ; 4-byte Folded Spill
	v_fma_f64 v[66:67], v[74:75], s[8:9], v[76:77]
	v_fma_f64 v[74:75], v[74:75], s[2:3], v[76:77]
	;; [unrolled: 1-line block ×6, first 2 shown]
	v_mul_f64 v[70:71], v[66:67], s[2:3]
	s_delay_alu instid0(VALU_DEP_4) | instskip(NEXT) | instid1(VALU_DEP_2)
	v_mul_f64 v[76:77], v[80:81], -0.5
	v_fma_f64 v[70:71], v[68:69], 0.5, v[70:71]
	v_mul_f64 v[68:69], v[68:69], s[8:9]
	s_delay_alu instid0(VALU_DEP_3) | instskip(SKIP_1) | instid1(VALU_DEP_3)
	v_fma_f64 v[84:85], v[74:75], s[2:3], v[76:77]
	v_mul_f64 v[74:75], v[74:75], -0.5
	v_fma_f64 v[72:73], v[66:67], 0.5, v[68:69]
	v_add_f64 v[66:67], v[86:87], v[70:71]
	v_add_f64 v[70:71], v[86:87], -v[70:71]
	s_delay_alu instid0(VALU_DEP_4)
	v_fma_f64 v[80:81], v[80:81], s[8:9], v[74:75]
	v_add_f64 v[74:75], v[78:79], v[84:85]
	v_add_f64 v[78:79], v[78:79], -v[84:85]
	v_add_f64 v[68:69], v[88:89], v[72:73]
	v_add_f64 v[72:73], v[88:89], -v[72:73]
	;; [unrolled: 2-line block ×3, first 2 shown]
	ds_store_b128 v0, v[151:154]
	ds_store_b128 v0, v[66:69] offset:960
	ds_store_b128 v0, v[74:77] offset:1920
	;; [unrolled: 1-line block ×5, first 2 shown]
	s_waitcnt lgkmcnt(0)
	s_waitcnt_vscnt null, 0x0
	s_barrier
	buffer_gl0_inv
	global_load_b128 v[18:21], v[12:13], off offset:1504
	ds_load_b128 v[0:3], v4 offset:23040
	ds_load_b128 v[129:132], v4 offset:21504
	s_clause 0x1
	scratch_store_b32 off, v255, off offset:508
	scratch_store_b32 off, v253, off offset:1116
	v_mov_b32_e32 v158, v252
	ds_load_b128 v[34:37], v4 offset:4608
	ds_load_b128 v[42:45], v4 offset:6144
	;; [unrolled: 1-line block ×10, first 2 shown]
	s_waitcnt vmcnt(0) lgkmcnt(11)
	v_mul_f64 v[8:9], v[2:3], v[20:21]
	scratch_store_b128 off, v[18:21], off offset:1372 ; 16-byte Folded Spill
	v_fma_f64 v[14:15], v[0:1], v[18:19], -v[8:9]
	v_mul_f64 v[0:1], v[0:1], v[20:21]
	s_delay_alu instid0(VALU_DEP_1)
	v_fma_f64 v[16:17], v[2:3], v[18:19], v[0:1]
	global_load_b128 v[18:21], v[12:13], off offset:3040
	ds_load_b128 v[0:3], v4 offset:24576
	s_waitcnt vmcnt(0) lgkmcnt(0)
	v_mul_f64 v[8:9], v[2:3], v[20:21]
	scratch_store_b128 off, v[18:21], off offset:1388 ; 16-byte Folded Spill
	v_fma_f64 v[22:23], v[0:1], v[18:19], -v[8:9]
	v_mul_f64 v[0:1], v[0:1], v[20:21]
	ds_load_b128 v[8:11], v4 offset:26112
	v_fma_f64 v[24:25], v[2:3], v[18:19], v[0:1]
	v_add_co_u32 v0, vcc_lo, 0x2000, v6
	v_add_co_ci_u32_e32 v1, vcc_lo, 0, v7, vcc_lo
	v_cmp_gt_u16_e32 vcc_lo, 0x48, v5
	global_load_b128 v[18:21], v[0:1], off offset:480
	s_waitcnt vmcnt(0) lgkmcnt(0)
	v_mul_f64 v[2:3], v[10:11], v[20:21]
	s_delay_alu instid0(VALU_DEP_1) | instskip(SKIP_1) | instid1(VALU_DEP_1)
	v_fma_f64 v[30:31], v[8:9], v[18:19], -v[2:3]
	v_mul_f64 v[2:3], v[8:9], v[20:21]
	v_fma_f64 v[32:33], v[10:11], v[18:19], v[2:3]
	v_add_co_u32 v2, s31, 0xffffffb8, v252
	v_add_co_ci_u32_e64 v3, null, 0, 0, s30
	v_add_co_ci_u32_e64 v8, null, 0, -1, s31
	s_delay_alu instid0(VALU_DEP_3) | instskip(SKIP_2) | instid1(VALU_DEP_1)
	v_cndmask_b32_e32 v2, v2, v105, vcc_lo
	ds_load_b128 v[105:108], v4 offset:16896
	v_cndmask_b32_e32 v3, v8, v3, vcc_lo
	v_lshlrev_b64 v[8:9], 4, v[2:3]
	s_delay_alu instid0(VALU_DEP_1) | instskip(NEXT) | instid1(VALU_DEP_2)
	v_add_co_u32 v3, vcc_lo, s10, v8
	v_add_co_ci_u32_e32 v9, vcc_lo, s11, v9, vcc_lo
	s_delay_alu instid0(VALU_DEP_2) | instskip(NEXT) | instid1(VALU_DEP_2)
	v_add_co_u32 v8, vcc_lo, 0x1000, v3
	v_add_co_ci_u32_e32 v9, vcc_lo, 0, v9, vcc_lo
	global_load_b128 v[26:29], v[8:9], off offset:1504
	ds_load_b128 v[8:11], v4 offset:27648
	scratch_store_b128 off, v[18:21], off offset:1404 ; 16-byte Folded Spill
	s_waitcnt vmcnt(0)
	scratch_store_b128 off, v[26:29], off offset:1420 ; 16-byte Folded Spill
	s_waitcnt lgkmcnt(0)
	v_mul_f64 v[18:19], v[10:11], v[28:29]
	s_delay_alu instid0(VALU_DEP_1) | instskip(SKIP_1) | instid1(VALU_DEP_2)
	v_fma_f64 v[38:39], v[8:9], v[26:27], -v[18:19]
	v_mul_f64 v[8:9], v[8:9], v[28:29]
	v_add_f64 v[38:39], v[34:35], -v[38:39]
	s_delay_alu instid0(VALU_DEP_2) | instskip(SKIP_4) | instid1(VALU_DEP_1)
	v_fma_f64 v[40:41], v[10:11], v[26:27], v[8:9]
	global_load_b128 v[26:29], v[12:13], off offset:1888
	ds_load_b128 v[8:11], v4 offset:29184
	v_fma_f64 v[34:35], v[34:35], 2.0, -v[38:39]
	v_add_f64 v[40:41], v[36:37], -v[40:41]
	v_fma_f64 v[36:37], v[36:37], 2.0, -v[40:41]
	s_waitcnt vmcnt(0) lgkmcnt(0)
	v_mul_f64 v[18:19], v[10:11], v[28:29]
	s_delay_alu instid0(VALU_DEP_1)
	v_fma_f64 v[46:47], v[8:9], v[26:27], -v[18:19]
	global_load_b128 v[18:21], v[12:13], off offset:3424
	v_mul_f64 v[8:9], v[8:9], v[28:29]
	scratch_store_b128 off, v[26:29], off offset:1436 ; 16-byte Folded Spill
	v_add_f64 v[46:47], v[42:43], -v[46:47]
	v_fma_f64 v[48:49], v[10:11], v[26:27], v[8:9]
	ds_load_b128 v[8:11], v4 offset:30720
	v_fma_f64 v[42:43], v[42:43], 2.0, -v[46:47]
	v_add_f64 v[48:49], v[44:45], -v[48:49]
	s_delay_alu instid0(VALU_DEP_1) | instskip(SKIP_4) | instid1(VALU_DEP_1)
	v_fma_f64 v[44:45], v[44:45], 2.0, -v[48:49]
	s_waitcnt vmcnt(0)
	scratch_store_b128 off, v[18:21], off offset:1452 ; 16-byte Folded Spill
	s_waitcnt lgkmcnt(0)
	v_mul_f64 v[12:13], v[10:11], v[20:21]
	v_fma_f64 v[54:55], v[8:9], v[18:19], -v[12:13]
	v_mul_f64 v[8:9], v[8:9], v[20:21]
	s_delay_alu instid0(VALU_DEP_2) | instskip(NEXT) | instid1(VALU_DEP_2)
	v_add_f64 v[54:55], v[50:51], -v[54:55]
	v_fma_f64 v[56:57], v[10:11], v[18:19], v[8:9]
	global_load_b128 v[18:21], v[0:1], off offset:864
	ds_load_b128 v[8:11], v4 offset:32256
	v_fma_f64 v[50:51], v[50:51], 2.0, -v[54:55]
	v_add_f64 v[56:57], v[52:53], -v[56:57]
	s_delay_alu instid0(VALU_DEP_1) | instskip(SKIP_2) | instid1(VALU_DEP_1)
	v_fma_f64 v[52:53], v[52:53], 2.0, -v[56:57]
	s_waitcnt vmcnt(0) lgkmcnt(0)
	v_mul_f64 v[12:13], v[10:11], v[20:21]
	v_fma_f64 v[62:63], v[8:9], v[18:19], -v[12:13]
	v_mul_f64 v[8:9], v[8:9], v[20:21]
	s_delay_alu instid0(VALU_DEP_2) | instskip(NEXT) | instid1(VALU_DEP_2)
	v_add_f64 v[62:63], v[58:59], -v[62:63]
	v_fma_f64 v[64:65], v[10:11], v[18:19], v[8:9]
	v_add_co_u32 v8, s30, 0x2a0, v252
	s_delay_alu instid0(VALU_DEP_1) | instskip(NEXT) | instid1(VALU_DEP_1)
	v_and_b32_e32 v3, 0xffff, v8
	v_mul_u32_u24_e32 v3, 0x2d83, v3
	s_delay_alu instid0(VALU_DEP_1) | instskip(NEXT) | instid1(VALU_DEP_1)
	v_lshrrev_b32_e32 v3, 22, v3
	v_mul_lo_u16 v9, 0x168, v3
	s_delay_alu instid0(VALU_DEP_1) | instskip(NEXT) | instid1(VALU_DEP_1)
	v_sub_nc_u16 v9, v8, v9
	v_and_b32_e32 v10, 0xffff, v9
	s_delay_alu instid0(VALU_DEP_1) | instskip(SKIP_2) | instid1(VALU_DEP_3)
	v_lshlrev_b32_e32 v10, 4, v10
	v_fma_f64 v[58:59], v[58:59], 2.0, -v[62:63]
	v_add_f64 v[64:65], v[60:61], -v[64:65]
	v_add_co_u32 v10, s31, s10, v10
	s_delay_alu instid0(VALU_DEP_1) | instskip(NEXT) | instid1(VALU_DEP_2)
	v_add_co_ci_u32_e64 v11, null, s11, 0, s31
	v_add_co_u32 v10, vcc_lo, 0x1000, v10
	s_delay_alu instid0(VALU_DEP_2)
	v_add_co_ci_u32_e32 v11, vcc_lo, 0, v11, vcc_lo
	global_load_b128 v[26:29], v[10:11], off offset:1504
	ds_load_b128 v[10:13], v4 offset:33792
	scratch_store_b128 off, v[18:21], off offset:1468 ; 16-byte Folded Spill
	v_fma_f64 v[60:61], v[60:61], 2.0, -v[64:65]
	s_waitcnt vmcnt(0)
	scratch_store_b128 off, v[26:29], off offset:1484 ; 16-byte Folded Spill
	s_waitcnt lgkmcnt(0)
	v_mul_f64 v[18:19], v[12:13], v[28:29]
	s_delay_alu instid0(VALU_DEP_1) | instskip(SKIP_1) | instid1(VALU_DEP_2)
	v_fma_f64 v[70:71], v[10:11], v[26:27], -v[18:19]
	v_mul_f64 v[10:11], v[10:11], v[28:29]
	v_add_f64 v[70:71], v[66:67], -v[70:71]
	s_delay_alu instid0(VALU_DEP_2) | instskip(SKIP_1) | instid1(VALU_DEP_1)
	v_fma_f64 v[72:73], v[12:13], v[26:27], v[10:11]
	v_mul_u32_u24_e32 v10, 0x2d83, v255
	v_lshrrev_b32_e32 v10, 22, v10
	s_delay_alu instid0(VALU_DEP_1) | instskip(NEXT) | instid1(VALU_DEP_1)
	v_mul_lo_u16 v10, 0x168, v10
	v_sub_nc_u16 v10, v255, v10
	s_delay_alu instid0(VALU_DEP_1) | instskip(NEXT) | instid1(VALU_DEP_1)
	v_and_b32_e32 v10, 0xffff, v10
	v_lshlrev_b32_e32 v140, 4, v10
	s_delay_alu instid0(VALU_DEP_1) | instskip(NEXT) | instid1(VALU_DEP_1)
	v_add_co_u32 v10, s31, s10, v140
	v_add_co_ci_u32_e64 v11, null, s11, 0, s31
	s_delay_alu instid0(VALU_DEP_2) | instskip(NEXT) | instid1(VALU_DEP_2)
	v_add_co_u32 v10, vcc_lo, 0x1000, v10
	v_add_co_ci_u32_e32 v11, vcc_lo, 0, v11, vcc_lo
	v_add_f64 v[72:73], v[68:69], -v[72:73]
	v_fma_f64 v[66:67], v[66:67], 2.0, -v[70:71]
	global_load_b128 v[26:29], v[10:11], off offset:1504
	ds_load_b128 v[10:13], v4 offset:35328
	v_fma_f64 v[68:69], v[68:69], 2.0, -v[72:73]
	s_waitcnt vmcnt(0) lgkmcnt(0)
	v_mul_f64 v[18:19], v[12:13], v[28:29]
	scratch_store_b128 off, v[26:29], off offset:1504 ; 16-byte Folded Spill
	v_fma_f64 v[78:79], v[10:11], v[26:27], -v[18:19]
	v_mul_f64 v[10:11], v[10:11], v[28:29]
	s_delay_alu instid0(VALU_DEP_2) | instskip(NEXT) | instid1(VALU_DEP_2)
	v_add_f64 v[78:79], v[74:75], -v[78:79]
	v_fma_f64 v[80:81], v[12:13], v[26:27], v[10:11]
	v_add_nc_u32_e32 v10, 0x360, v158
	s_delay_alu instid0(VALU_DEP_1) | instskip(NEXT) | instid1(VALU_DEP_1)
	v_and_b32_e32 v11, 0xffff, v10
	v_mul_u32_u24_e32 v11, 0x2d83, v11
	s_delay_alu instid0(VALU_DEP_1) | instskip(NEXT) | instid1(VALU_DEP_1)
	v_lshrrev_b32_e32 v11, 22, v11
	v_mul_lo_u16 v11, 0x168, v11
	s_delay_alu instid0(VALU_DEP_1) | instskip(NEXT) | instid1(VALU_DEP_1)
	v_sub_nc_u16 v10, v10, v11
	v_and_b32_e32 v10, 0xffff, v10
	s_delay_alu instid0(VALU_DEP_1) | instskip(SKIP_2) | instid1(VALU_DEP_3)
	v_lshlrev_b32_e32 v141, 4, v10
	v_fma_f64 v[74:75], v[74:75], 2.0, -v[78:79]
	v_add_f64 v[80:81], v[76:77], -v[80:81]
	v_add_co_u32 v10, s31, s10, v141
	s_delay_alu instid0(VALU_DEP_1) | instskip(NEXT) | instid1(VALU_DEP_2)
	v_add_co_ci_u32_e64 v11, null, s11, 0, s31
	v_add_co_u32 v10, vcc_lo, 0x1000, v10
	s_delay_alu instid0(VALU_DEP_2)
	v_add_co_ci_u32_e32 v11, vcc_lo, 0, v11, vcc_lo
	global_load_b128 v[26:29], v[10:11], off offset:1504
	ds_load_b128 v[10:13], v4 offset:36864
	v_fma_f64 v[76:77], v[76:77], 2.0, -v[80:81]
	s_waitcnt vmcnt(0) lgkmcnt(0)
	v_mul_f64 v[18:19], v[12:13], v[28:29]
	scratch_store_b128 off, v[26:29], off offset:1520 ; 16-byte Folded Spill
	v_fma_f64 v[86:87], v[10:11], v[26:27], -v[18:19]
	v_mul_f64 v[10:11], v[10:11], v[28:29]
	s_delay_alu instid0(VALU_DEP_2) | instskip(NEXT) | instid1(VALU_DEP_2)
	v_add_f64 v[90:91], v[82:83], -v[86:87]
	v_fma_f64 v[88:89], v[12:13], v[26:27], v[10:11]
	v_add_nc_u32_e32 v10, 0x3c0, v158
	s_delay_alu instid0(VALU_DEP_1) | instskip(NEXT) | instid1(VALU_DEP_1)
	v_and_b32_e32 v11, 0xffff, v10
	v_mul_u32_u24_e32 v11, 0x2d83, v11
	s_delay_alu instid0(VALU_DEP_1) | instskip(NEXT) | instid1(VALU_DEP_1)
	v_lshrrev_b32_e32 v11, 22, v11
	v_mul_lo_u16 v11, 0x168, v11
	s_delay_alu instid0(VALU_DEP_1) | instskip(NEXT) | instid1(VALU_DEP_1)
	v_sub_nc_u16 v10, v10, v11
	v_and_b32_e32 v10, 0xffff, v10
	s_delay_alu instid0(VALU_DEP_1) | instskip(SKIP_2) | instid1(VALU_DEP_3)
	v_lshlrev_b32_e32 v142, 4, v10
	v_fma_f64 v[82:83], v[82:83], 2.0, -v[90:91]
	v_add_f64 v[92:93], v[84:85], -v[88:89]
	v_add_co_u32 v10, s31, s10, v142
	s_delay_alu instid0(VALU_DEP_1) | instskip(NEXT) | instid1(VALU_DEP_2)
	v_add_co_ci_u32_e64 v11, null, s11, 0, s31
	v_add_co_u32 v10, vcc_lo, 0x1000, v10
	s_delay_alu instid0(VALU_DEP_2)
	v_add_co_ci_u32_e32 v11, vcc_lo, 0, v11, vcc_lo
	global_load_b128 v[26:29], v[10:11], off offset:1504
	ds_load_b128 v[10:13], v4 offset:38400
	v_fma_f64 v[84:85], v[84:85], 2.0, -v[92:93]
	s_waitcnt vmcnt(0) lgkmcnt(0)
	v_mul_f64 v[18:19], v[12:13], v[28:29]
	scratch_store_b128 off, v[26:29], off offset:1536 ; 16-byte Folded Spill
	v_fma_f64 v[98:99], v[10:11], v[26:27], -v[18:19]
	v_mul_f64 v[10:11], v[10:11], v[28:29]
	s_delay_alu instid0(VALU_DEP_2) | instskip(NEXT) | instid1(VALU_DEP_2)
	v_add_f64 v[98:99], v[94:95], -v[98:99]
	v_fma_f64 v[100:101], v[12:13], v[26:27], v[10:11]
	v_add_co_u32 v10, null, 0x420, v158
	s_delay_alu instid0(VALU_DEP_1) | instskip(NEXT) | instid1(VALU_DEP_1)
	v_and_b32_e32 v11, 0xffff, v10
	v_mul_u32_u24_e32 v11, 0x2d83, v11
	s_delay_alu instid0(VALU_DEP_1) | instskip(NEXT) | instid1(VALU_DEP_1)
	v_lshrrev_b32_e32 v104, 22, v11
	v_mul_lo_u16 v11, 0x168, v104
	s_delay_alu instid0(VALU_DEP_1) | instskip(NEXT) | instid1(VALU_DEP_1)
	v_sub_nc_u16 v135, v10, v11
	v_and_b32_e32 v10, 0xffff, v135
	s_delay_alu instid0(VALU_DEP_1) | instskip(SKIP_2) | instid1(VALU_DEP_3)
	v_lshlrev_b32_e32 v10, 4, v10
	v_fma_f64 v[94:95], v[94:95], 2.0, -v[98:99]
	v_add_f64 v[100:101], v[96:97], -v[100:101]
	v_add_co_u32 v10, s31, s10, v10
	s_delay_alu instid0(VALU_DEP_1) | instskip(NEXT) | instid1(VALU_DEP_2)
	v_add_co_ci_u32_e64 v11, null, s11, 0, s31
	v_add_co_u32 v10, vcc_lo, 0x1000, v10
	s_delay_alu instid0(VALU_DEP_2)
	v_add_co_ci_u32_e32 v11, vcc_lo, 0, v11, vcc_lo
	global_load_b128 v[26:29], v[10:11], off offset:1504
	ds_load_b128 v[10:13], v4 offset:39936
	v_fma_f64 v[96:97], v[96:97], 2.0, -v[100:101]
	s_waitcnt vmcnt(0) lgkmcnt(0)
	v_mul_f64 v[18:19], v[12:13], v[28:29]
	scratch_store_b128 off, v[26:29], off offset:1552 ; 16-byte Folded Spill
	v_fma_f64 v[102:103], v[10:11], v[26:27], -v[18:19]
	v_mul_f64 v[10:11], v[10:11], v[28:29]
	s_delay_alu instid0(VALU_DEP_2) | instskip(NEXT) | instid1(VALU_DEP_2)
	v_add_f64 v[109:110], v[105:106], -v[102:103]
	v_fma_f64 v[111:112], v[12:13], v[26:27], v[10:11]
	v_mul_u32_u24_e32 v10, 0x2d83, v253
	s_delay_alu instid0(VALU_DEP_1) | instskip(NEXT) | instid1(VALU_DEP_1)
	v_lshrrev_b32_e32 v10, 22, v10
	v_mul_lo_u16 v10, 0x168, v10
	s_delay_alu instid0(VALU_DEP_1) | instskip(NEXT) | instid1(VALU_DEP_1)
	v_sub_nc_u16 v10, v253, v10
	v_and_b32_e32 v10, 0xffff, v10
	s_delay_alu instid0(VALU_DEP_1) | instskip(NEXT) | instid1(VALU_DEP_1)
	v_lshlrev_b32_e32 v143, 4, v10
	v_add_co_u32 v10, s31, s10, v143
	s_delay_alu instid0(VALU_DEP_1) | instskip(NEXT) | instid1(VALU_DEP_2)
	v_add_co_ci_u32_e64 v11, null, s11, 0, s31
	v_add_co_u32 v10, vcc_lo, 0x1000, v10
	s_delay_alu instid0(VALU_DEP_2)
	v_add_co_ci_u32_e32 v11, vcc_lo, 0, v11, vcc_lo
	v_add_f64 v[111:112], v[107:108], -v[111:112]
	v_fma_f64 v[105:106], v[105:106], 2.0, -v[109:110]
	global_load_b128 v[26:29], v[10:11], off offset:1504
	ds_load_b128 v[10:13], v4 offset:41472
	v_fma_f64 v[107:108], v[107:108], 2.0, -v[111:112]
	s_waitcnt vmcnt(0) lgkmcnt(0)
	v_mul_f64 v[18:19], v[12:13], v[28:29]
	scratch_store_b128 off, v[26:29], off offset:1568 ; 16-byte Folded Spill
	v_fma_f64 v[117:118], v[10:11], v[26:27], -v[18:19]
	v_mul_f64 v[10:11], v[10:11], v[28:29]
	s_delay_alu instid0(VALU_DEP_2) | instskip(NEXT) | instid1(VALU_DEP_2)
	v_add_f64 v[117:118], v[113:114], -v[117:118]
	v_fma_f64 v[119:120], v[12:13], v[26:27], v[10:11]
	v_add_nc_u32_e32 v10, 0x4e0, v158
	s_delay_alu instid0(VALU_DEP_1) | instskip(NEXT) | instid1(VALU_DEP_1)
	v_and_b32_e32 v11, 0xffff, v10
	v_mul_u32_u24_e32 v11, 0x2d83, v11
	s_delay_alu instid0(VALU_DEP_1) | instskip(NEXT) | instid1(VALU_DEP_1)
	v_lshrrev_b32_e32 v11, 22, v11
	v_mul_lo_u16 v11, 0x168, v11
	s_delay_alu instid0(VALU_DEP_1) | instskip(NEXT) | instid1(VALU_DEP_1)
	v_sub_nc_u16 v10, v10, v11
	v_and_b32_e32 v10, 0xffff, v10
	s_delay_alu instid0(VALU_DEP_1) | instskip(SKIP_2) | instid1(VALU_DEP_3)
	v_lshlrev_b32_e32 v144, 4, v10
	v_fma_f64 v[113:114], v[113:114], 2.0, -v[117:118]
	v_add_f64 v[119:120], v[115:116], -v[119:120]
	v_add_co_u32 v10, s31, s10, v144
	s_delay_alu instid0(VALU_DEP_1) | instskip(NEXT) | instid1(VALU_DEP_2)
	v_add_co_ci_u32_e64 v11, null, s11, 0, s31
	v_add_co_u32 v10, vcc_lo, 0x1000, v10
	s_delay_alu instid0(VALU_DEP_2)
	v_add_co_ci_u32_e32 v11, vcc_lo, 0, v11, vcc_lo
	global_load_b128 v[26:29], v[10:11], off offset:1504
	ds_load_b128 v[10:13], v4 offset:43008
	v_fma_f64 v[115:116], v[115:116], 2.0, -v[119:120]
	s_waitcnt vmcnt(0) lgkmcnt(0)
	v_mul_f64 v[18:19], v[12:13], v[28:29]
	scratch_store_b128 off, v[26:29], off offset:1592 ; 16-byte Folded Spill
	v_fma_f64 v[125:126], v[10:11], v[26:27], -v[18:19]
	v_mul_f64 v[10:11], v[10:11], v[28:29]
	s_delay_alu instid0(VALU_DEP_2) | instskip(NEXT) | instid1(VALU_DEP_2)
	v_add_f64 v[125:126], v[121:122], -v[125:126]
	v_fma_f64 v[127:128], v[12:13], v[26:27], v[10:11]
	v_add_nc_u32_e32 v10, 0x540, v158
	s_delay_alu instid0(VALU_DEP_1) | instskip(NEXT) | instid1(VALU_DEP_1)
	v_and_b32_e32 v11, 0xffff, v10
	v_mul_u32_u24_e32 v11, 0x2d83, v11
	s_delay_alu instid0(VALU_DEP_1) | instskip(NEXT) | instid1(VALU_DEP_1)
	v_lshrrev_b32_e32 v11, 22, v11
	v_mul_lo_u16 v11, 0x168, v11
	s_delay_alu instid0(VALU_DEP_1) | instskip(NEXT) | instid1(VALU_DEP_1)
	v_sub_nc_u16 v10, v10, v11
	v_and_b32_e32 v10, 0xffff, v10
	s_delay_alu instid0(VALU_DEP_1) | instskip(SKIP_2) | instid1(VALU_DEP_3)
	v_lshlrev_b32_e32 v145, 4, v10
	v_fma_f64 v[121:122], v[121:122], 2.0, -v[125:126]
	v_add_f64 v[127:128], v[123:124], -v[127:128]
	v_add_co_u32 v10, s31, s10, v145
	s_delay_alu instid0(VALU_DEP_1) | instskip(NEXT) | instid1(VALU_DEP_2)
	v_add_co_ci_u32_e64 v11, null, s11, 0, s31
	v_add_co_u32 v10, vcc_lo, 0x1000, v10
	s_delay_alu instid0(VALU_DEP_2)
	v_add_co_ci_u32_e32 v11, vcc_lo, 0, v11, vcc_lo
	v_cmp_lt_u16_e32 vcc_lo, 0x47, v5
	global_load_b128 v[26:29], v[10:11], off offset:1504
	ds_load_b128 v[10:13], v4 offset:44544
	v_fma_f64 v[123:124], v[123:124], 2.0, -v[127:128]
	s_waitcnt vmcnt(0) lgkmcnt(0)
	v_mul_f64 v[18:19], v[12:13], v[28:29]
	scratch_store_b128 off, v[26:29], off offset:1632 ; 16-byte Folded Spill
	v_fma_f64 v[133:134], v[10:11], v[26:27], -v[18:19]
	v_mul_f64 v[10:11], v[10:11], v[28:29]
	ds_load_b128 v[18:21], v4 offset:1536
	s_waitcnt lgkmcnt(0)
	v_add_f64 v[22:23], v[18:19], -v[22:23]
	v_add_f64 v[24:25], v[20:21], -v[24:25]
	;; [unrolled: 1-line block ×3, first 2 shown]
	v_fma_f64 v[138:139], v[12:13], v[26:27], v[10:11]
	ds_load_b128 v[10:13], v4
	ds_load_b128 v[26:29], v4 offset:3072
	s_waitcnt lgkmcnt(0)
	s_waitcnt_vscnt null, 0x0
	s_barrier
	buffer_gl0_inv
	v_add_f64 v[14:15], v[10:11], -v[14:15]
	v_add_f64 v[16:17], v[12:13], -v[16:17]
	;; [unrolled: 1-line block ×4, first 2 shown]
	v_fma_f64 v[18:19], v[18:19], 2.0, -v[22:23]
	v_fma_f64 v[20:21], v[20:21], 2.0, -v[24:25]
	;; [unrolled: 1-line block ×3, first 2 shown]
	v_add_f64 v[138:139], v[131:132], -v[138:139]
	v_fma_f64 v[10:11], v[10:11], 2.0, -v[14:15]
	v_fma_f64 v[12:13], v[12:13], 2.0, -v[16:17]
	;; [unrolled: 1-line block ×4, first 2 shown]
	ds_store_b128 v4, v[14:17] offset:5760
	ds_store_b128 v4, v[22:25] offset:7296
	;; [unrolled: 1-line block ×3, first 2 shown]
	ds_store_b128 v4, v[10:13]
	ds_store_b128 v4, v[18:21] offset:1536
	ds_store_b128 v4, v[26:29] offset:3072
	v_cndmask_b32_e64 v10, 0, 0x2d0, vcc_lo
	v_fma_f64 v[131:132], v[131:132], 2.0, -v[138:139]
	s_delay_alu instid0(VALU_DEP_2)
	v_add_lshl_u32 v2, v2, v10, 4
	scratch_store_b32 off, v2, off offset:1648 ; 4-byte Folded Spill
	ds_store_b128 v2, v[34:37]
	ds_store_b128 v2, v[38:41] offset:5760
	ds_store_b128 v4, v[42:45] offset:11904
	;; [unrolled: 1-line block ×7, first 2 shown]
	v_mad_u16 v2, 0x2d0, v3, v9
	s_delay_alu instid0(VALU_DEP_1) | instskip(NEXT) | instid1(VALU_DEP_1)
	v_and_b32_e32 v2, 0xffff, v2
	v_lshlrev_b32_e32 v2, 4, v2
	scratch_store_b32 off, v2, off offset:1628 ; 4-byte Folded Spill
	ds_store_b128 v2, v[66:69]
	ds_store_b128 v2, v[70:73] offset:5760
	v_mad_u16 v2, 0x2d0, v104, v135
	scratch_store_b32 off, v140, off offset:1624 ; 4-byte Folded Spill
	ds_store_b128 v140, v[74:77] offset:23040
	ds_store_b128 v140, v[78:81] offset:28800
	scratch_store_b32 off, v141, off offset:1620 ; 4-byte Folded Spill
	ds_store_b128 v141, v[82:85] offset:23040
	ds_store_b128 v141, v[90:93] offset:28800
	v_and_b32_e32 v2, 0xffff, v2
	scratch_store_b32 off, v142, off offset:1616 ; 4-byte Folded Spill
	ds_store_b128 v142, v[94:97] offset:23040
	ds_store_b128 v142, v[98:101] offset:28800
	v_lshlrev_b32_e32 v2, 4, v2
	scratch_store_b32 off, v2, off offset:1612 ; 4-byte Folded Spill
	ds_store_b128 v2, v[105:108]
	ds_store_b128 v2, v[109:112] offset:5760
	scratch_store_b32 off, v143, off offset:1608 ; 4-byte Folded Spill
	ds_store_b128 v143, v[113:116] offset:34560
	ds_store_b128 v143, v[117:120] offset:40320
	scratch_store_b32 off, v144, off offset:1588 ; 4-byte Folded Spill
	ds_store_b128 v144, v[121:124] offset:34560
	;; [unrolled: 3-line block ×3, first 2 shown]
	ds_store_b128 v145, v[136:139] offset:40320
	s_waitcnt lgkmcnt(0)
	s_waitcnt_vscnt null, 0x0
	s_barrier
	buffer_gl0_inv
	s_clause 0x1
	global_load_b128 v[15:18], v[0:1], off offset:3168
	global_load_b128 v[212:215], v[0:1], off offset:3936
	ds_load_b128 v[9:12], v4 offset:23040
	ds_load_b128 v[64:67], v4 offset:10752
	;; [unrolled: 1-line block ×13, first 2 shown]
	s_waitcnt vmcnt(1) lgkmcnt(12)
	v_mul_f64 v[2:3], v[11:12], v[17:18]
	scratch_store_b128 off, v[15:18], off offset:1652 ; 16-byte Folded Spill
	v_fma_f64 v[13:14], v[9:10], v[15:16], -v[2:3]
	v_mul_f64 v[2:3], v[9:10], v[17:18]
	v_add_co_u32 v17, vcc_lo, 0x3000, v6
	v_add_co_ci_u32_e32 v18, vcc_lo, 0, v7, vcc_lo
	s_clause 0x2
	global_load_b128 v[22:25], v[17:18], off offset:608
	global_load_b128 v[216:219], v[17:18], off offset:1376
	;; [unrolled: 1-line block ×3, first 2 shown]
	v_fma_f64 v[15:16], v[11:12], v[15:16], v[2:3]
	ds_load_b128 v[9:12], v4 offset:24576
	s_waitcnt vmcnt(2) lgkmcnt(0)
	v_mul_f64 v[2:3], v[11:12], v[24:25]
	scratch_store_b128 off, v[22:25], off offset:1668 ; 16-byte Folded Spill
	v_fma_f64 v[20:21], v[9:10], v[22:23], -v[2:3]
	v_mul_f64 v[2:3], v[9:10], v[24:25]
	global_load_b128 v[24:27], v[17:18], off offset:2144
	v_fma_f64 v[22:23], v[11:12], v[22:23], v[2:3]
	ds_load_b128 v[9:12], v4 offset:26112
	s_waitcnt vmcnt(0) lgkmcnt(0)
	v_mul_f64 v[2:3], v[11:12], v[26:27]
	scratch_store_b128 off, v[24:27], off offset:1684 ; 16-byte Folded Spill
	v_fma_f64 v[28:29], v[9:10], v[24:25], -v[2:3]
	v_mul_f64 v[2:3], v[9:10], v[26:27]
	s_delay_alu instid0(VALU_DEP_1)
	v_fma_f64 v[30:31], v[11:12], v[24:25], v[2:3]
	global_load_b128 v[24:27], v[17:18], off offset:3680
	ds_load_b128 v[9:12], v4 offset:27648
	s_waitcnt vmcnt(0) lgkmcnt(0)
	v_mul_f64 v[2:3], v[11:12], v[26:27]
	scratch_store_b128 off, v[24:27], off offset:1700 ; 16-byte Folded Spill
	v_fma_f64 v[36:37], v[9:10], v[24:25], -v[2:3]
	v_mul_f64 v[2:3], v[9:10], v[26:27]
	s_delay_alu instid0(VALU_DEP_2) | instskip(NEXT) | instid1(VALU_DEP_2)
	v_add_f64 v[36:37], v[32:33], -v[36:37]
	v_fma_f64 v[38:39], v[11:12], v[24:25], v[2:3]
	v_add_co_u32 v24, vcc_lo, 0x4000, v6
	v_add_co_ci_u32_e32 v25, vcc_lo, 0, v7, vcc_lo
	ds_load_b128 v[9:12], v4 offset:29184
	s_clause 0x4
	global_load_b128 v[252:255], v[24:25], off offset:1120
	global_load_b128 v[208:211], v[24:25], off offset:352
	;; [unrolled: 1-line block ×5, first 2 shown]
	v_fma_f64 v[32:33], v[32:33], 2.0, -v[36:37]
	v_add_f64 v[38:39], v[34:35], -v[38:39]
	s_delay_alu instid0(VALU_DEP_1) | instskip(SKIP_2) | instid1(VALU_DEP_1)
	v_fma_f64 v[34:35], v[34:35], 2.0, -v[38:39]
	s_waitcnt vmcnt(4) lgkmcnt(0)
	v_mul_f64 v[2:3], v[11:12], v[254:255]
	v_fma_f64 v[44:45], v[9:10], v[252:253], -v[2:3]
	v_mul_f64 v[2:3], v[9:10], v[254:255]
	s_delay_alu instid0(VALU_DEP_2) | instskip(NEXT) | instid1(VALU_DEP_2)
	v_add_f64 v[44:45], v[40:41], -v[44:45]
	v_fma_f64 v[46:47], v[11:12], v[252:253], v[2:3]
	ds_load_b128 v[9:12], v4 offset:30720
	s_waitcnt vmcnt(2) lgkmcnt(0)
	v_mul_f64 v[2:3], v[11:12], v[250:251]
	v_fma_f64 v[40:41], v[40:41], 2.0, -v[44:45]
	v_add_f64 v[46:47], v[42:43], -v[46:47]
	s_delay_alu instid0(VALU_DEP_3) | instskip(SKIP_1) | instid1(VALU_DEP_3)
	v_fma_f64 v[52:53], v[9:10], v[248:249], -v[2:3]
	v_mul_f64 v[2:3], v[9:10], v[250:251]
	v_fma_f64 v[42:43], v[42:43], 2.0, -v[46:47]
	s_delay_alu instid0(VALU_DEP_3) | instskip(NEXT) | instid1(VALU_DEP_3)
	v_add_f64 v[52:53], v[48:49], -v[52:53]
	v_fma_f64 v[54:55], v[11:12], v[248:249], v[2:3]
	v_add_co_u32 v2, vcc_lo, 0x5000, v6
	v_add_co_ci_u32_e32 v3, vcc_lo, 0, v7, vcc_lo
	ds_load_b128 v[9:12], v4 offset:32256
	v_cmp_gt_u16_e32 vcc_lo, 48, v5
	s_clause 0x1
	global_load_b128 v[236:239], v[2:3], off offset:96
	global_load_b128 v[192:195], v[2:3], off offset:864
	v_fma_f64 v[48:49], v[48:49], 2.0, -v[52:53]
	v_add_f64 v[54:55], v[50:51], -v[54:55]
	s_delay_alu instid0(VALU_DEP_1) | instskip(SKIP_2) | instid1(VALU_DEP_1)
	v_fma_f64 v[50:51], v[50:51], 2.0, -v[54:55]
	s_waitcnt vmcnt(1) lgkmcnt(0)
	v_mul_f64 v[26:27], v[11:12], v[238:239]
	v_fma_f64 v[60:61], v[9:10], v[236:237], -v[26:27]
	v_mul_f64 v[9:10], v[9:10], v[238:239]
	s_delay_alu instid0(VALU_DEP_2) | instskip(NEXT) | instid1(VALU_DEP_2)
	v_add_f64 v[60:61], v[56:57], -v[60:61]
	v_fma_f64 v[62:63], v[11:12], v[236:237], v[9:10]
	v_add_co_u32 v9, s31, 0xffffffd0, v158
	s_delay_alu instid0(VALU_DEP_1) | instskip(SKIP_2) | instid1(VALU_DEP_1)
	v_cndmask_b32_e32 v88, v9, v8, vcc_lo
	v_add_co_ci_u32_e64 v8, null, 0, 0, s30
	v_add_co_ci_u32_e64 v9, null, 0, -1, s31
	v_cndmask_b32_e32 v89, v9, v8, vcc_lo
	s_delay_alu instid0(VALU_DEP_1) | instskip(NEXT) | instid1(VALU_DEP_1)
	v_lshlrev_b64 v[8:9], 4, v[88:89]
	v_add_co_u32 v8, vcc_lo, s10, v8
	s_delay_alu instid0(VALU_DEP_2) | instskip(NEXT) | instid1(VALU_DEP_2)
	v_add_co_ci_u32_e32 v9, vcc_lo, s11, v9, vcc_lo
	v_add_co_u32 v8, vcc_lo, 0x2000, v8
	s_delay_alu instid0(VALU_DEP_2)
	v_add_co_ci_u32_e32 v9, vcc_lo, 0, v9, vcc_lo
	v_cmp_lt_u16_e32 vcc_lo, 47, v5
	global_load_b128 v[220:223], v[8:9], off offset:3168
	ds_load_b128 v[8:11], v4 offset:33792
	v_add_f64 v[62:63], v[58:59], -v[62:63]
	v_fma_f64 v[56:57], v[56:57], 2.0, -v[60:61]
	s_delay_alu instid0(VALU_DEP_2) | instskip(SKIP_2) | instid1(VALU_DEP_1)
	v_fma_f64 v[58:59], v[58:59], 2.0, -v[62:63]
	s_waitcnt vmcnt(0) lgkmcnt(0)
	v_mul_f64 v[26:27], v[10:11], v[222:223]
	v_fma_f64 v[68:69], v[8:9], v[220:221], -v[26:27]
	v_mul_f64 v[8:9], v[8:9], v[222:223]
	s_delay_alu instid0(VALU_DEP_2) | instskip(NEXT) | instid1(VALU_DEP_2)
	v_add_f64 v[68:69], v[64:65], -v[68:69]
	v_fma_f64 v[70:71], v[10:11], v[220:221], v[8:9]
	ds_load_b128 v[8:11], v4 offset:35328
	s_waitcnt lgkmcnt(0)
	v_mul_f64 v[0:1], v[10:11], v[214:215]
	v_fma_f64 v[64:65], v[64:65], 2.0, -v[68:69]
	v_add_f64 v[70:71], v[66:67], -v[70:71]
	s_delay_alu instid0(VALU_DEP_3) | instskip(SKIP_1) | instid1(VALU_DEP_3)
	v_fma_f64 v[0:1], v[8:9], v[212:213], -v[0:1]
	v_mul_f64 v[8:9], v[8:9], v[214:215]
	v_fma_f64 v[66:67], v[66:67], 2.0, -v[70:71]
	s_delay_alu instid0(VALU_DEP_3) | instskip(NEXT) | instid1(VALU_DEP_3)
	v_add_f64 v[76:77], v[72:73], -v[0:1]
	v_fma_f64 v[78:79], v[10:11], v[212:213], v[8:9]
	ds_load_b128 v[8:11], v4 offset:36864
	v_cndmask_b32_e64 v0, 0, 0x5a0, vcc_lo
	s_delay_alu instid0(VALU_DEP_1) | instskip(SKIP_4) | instid1(VALU_DEP_3)
	v_add_lshl_u32 v0, v88, v0, 4
	s_waitcnt lgkmcnt(0)
	v_mul_f64 v[26:27], v[10:11], v[218:219]
	v_fma_f64 v[72:73], v[72:73], 2.0, -v[76:77]
	v_add_f64 v[78:79], v[74:75], -v[78:79]
	v_fma_f64 v[84:85], v[8:9], v[216:217], -v[26:27]
	v_mul_f64 v[8:9], v[8:9], v[218:219]
	ds_load_b128 v[24:27], v4 offset:3072
	v_fma_f64 v[74:75], v[74:75], 2.0, -v[78:79]
	s_waitcnt lgkmcnt(0)
	v_add_f64 v[28:29], v[24:25], -v[28:29]
	v_add_f64 v[30:31], v[26:27], -v[30:31]
	;; [unrolled: 1-line block ×3, first 2 shown]
	v_fma_f64 v[86:87], v[10:11], v[216:217], v[8:9]
	ds_load_b128 v[8:11], v4 offset:38400
	s_waitcnt lgkmcnt(0)
	v_mul_f64 v[17:18], v[10:11], v[206:207]
	v_fma_f64 v[24:25], v[24:25], 2.0, -v[28:29]
	v_fma_f64 v[26:27], v[26:27], 2.0, -v[30:31]
	;; [unrolled: 1-line block ×3, first 2 shown]
	v_add_f64 v[86:87], v[82:83], -v[86:87]
	v_fma_f64 v[94:95], v[8:9], v[204:205], -v[17:18]
	v_mul_f64 v[8:9], v[8:9], v[206:207]
	s_delay_alu instid0(VALU_DEP_3) | instskip(NEXT) | instid1(VALU_DEP_3)
	v_fma_f64 v[82:83], v[82:83], 2.0, -v[86:87]
	v_add_f64 v[94:95], v[90:91], -v[94:95]
	s_delay_alu instid0(VALU_DEP_3)
	v_fma_f64 v[96:97], v[10:11], v[204:205], v[8:9]
	ds_load_b128 v[8:11], v4 offset:39936
	s_waitcnt lgkmcnt(0)
	v_mul_f64 v[17:18], v[10:11], v[210:211]
	v_fma_f64 v[90:91], v[90:91], 2.0, -v[94:95]
	v_add_f64 v[96:97], v[92:93], -v[96:97]
	s_delay_alu instid0(VALU_DEP_3) | instskip(SKIP_1) | instid1(VALU_DEP_3)
	v_fma_f64 v[102:103], v[8:9], v[208:209], -v[17:18]
	v_mul_f64 v[8:9], v[8:9], v[210:211]
	v_fma_f64 v[92:93], v[92:93], 2.0, -v[96:97]
	s_delay_alu instid0(VALU_DEP_3) | instskip(NEXT) | instid1(VALU_DEP_3)
	v_add_f64 v[105:106], v[98:99], -v[102:103]
	v_fma_f64 v[107:108], v[10:11], v[208:209], v[8:9]
	ds_load_b128 v[8:11], v4 offset:41472
	s_waitcnt lgkmcnt(0)
	v_mul_f64 v[17:18], v[10:11], v[202:203]
	v_fma_f64 v[98:99], v[98:99], 2.0, -v[105:106]
	v_add_f64 v[107:108], v[100:101], -v[107:108]
	s_delay_alu instid0(VALU_DEP_3) | instskip(SKIP_1) | instid1(VALU_DEP_3)
	v_fma_f64 v[113:114], v[8:9], v[200:201], -v[17:18]
	v_mul_f64 v[8:9], v[8:9], v[202:203]
	v_fma_f64 v[100:101], v[100:101], 2.0, -v[107:108]
	s_delay_alu instid0(VALU_DEP_3) | instskip(NEXT) | instid1(VALU_DEP_3)
	v_add_f64 v[113:114], v[109:110], -v[113:114]
	;; [unrolled: 12-line block ×4, first 2 shown]
	v_fma_f64 v[131:132], v[10:11], v[192:193], v[8:9]
	ds_load_b128 v[8:11], v4
	s_waitcnt lgkmcnt(0)
	v_add_f64 v[12:13], v[8:9], -v[13:14]
	v_add_f64 v[14:15], v[10:11], -v[15:16]
	ds_load_b128 v[16:19], v4 offset:1536
	s_waitcnt lgkmcnt(0)
	s_waitcnt_vscnt null, 0x0
	s_barrier
	buffer_gl0_inv
	v_fma_f64 v[125:126], v[125:126], 2.0, -v[164:165]
	v_add_f64 v[166:167], v[127:128], -v[131:132]
	v_add_f64 v[20:21], v[16:17], -v[20:21]
	;; [unrolled: 1-line block ×3, first 2 shown]
	v_fma_f64 v[8:9], v[8:9], 2.0, -v[12:13]
	v_fma_f64 v[10:11], v[10:11], 2.0, -v[14:15]
	;; [unrolled: 1-line block ×5, first 2 shown]
	ds_store_b128 v4, v[12:15] offset:11520
	ds_store_b128 v4, v[20:23] offset:13056
	;; [unrolled: 1-line block ×7, first 2 shown]
	ds_store_b128 v4, v[8:11]
	ds_store_b128 v4, v[16:19] offset:1536
	ds_store_b128 v4, v[24:27] offset:3072
	;; [unrolled: 1-line block ×6, first 2 shown]
	scratch_store_b32 off, v0, off offset:1716 ; 4-byte Folded Spill
	ds_store_b128 v0, v[64:67]
	ds_store_b128 v0, v[68:71] offset:11520
	ds_store_b128 v4, v[72:75] offset:23808
	;; [unrolled: 1-line block ×15, first 2 shown]
	s_waitcnt lgkmcnt(0)
	s_waitcnt_vscnt null, 0x0
	s_barrier
	buffer_gl0_inv
	s_clause 0x1
	global_load_b128 v[244:247], v[2:3], off offset:2400
	global_load_b128 v[232:235], v[2:3], off offset:3936
	ds_load_b128 v[8:11], v4 offset:23040
	ds_load_b128 v[94:97], v4 offset:13824
	;; [unrolled: 1-line block ×8, first 2 shown]
	s_waitcnt vmcnt(1) lgkmcnt(7)
	v_mul_f64 v[0:1], v[10:11], v[246:247]
	s_delay_alu instid0(VALU_DEP_1) | instskip(SKIP_1) | instid1(VALU_DEP_1)
	v_fma_f64 v[12:13], v[8:9], v[244:245], -v[0:1]
	v_mul_f64 v[0:1], v[8:9], v[246:247]
	v_fma_f64 v[8:9], v[10:11], v[244:245], v[0:1]
	ds_load_b128 v[0:3], v4 offset:24576
	s_waitcnt vmcnt(0) lgkmcnt(0)
	v_mul_f64 v[10:11], v[2:3], v[234:235]
	s_delay_alu instid0(VALU_DEP_1)
	v_fma_f64 v[14:15], v[0:1], v[232:233], -v[10:11]
	v_add_co_u32 v10, vcc_lo, 0x6000, v6
	v_add_co_ci_u32_e32 v11, vcc_lo, 0, v7, vcc_lo
	v_mul_f64 v[0:1], v[0:1], v[234:235]
	s_clause 0x1
	global_load_b128 v[228:231], v[10:11], off offset:1376
	global_load_b128 v[224:227], v[10:11], off offset:2912
	v_fma_f64 v[16:17], v[2:3], v[232:233], v[0:1]
	ds_load_b128 v[0:3], v4 offset:26112
	s_waitcnt vmcnt(1) lgkmcnt(0)
	v_mul_f64 v[18:19], v[2:3], v[230:231]
	s_delay_alu instid0(VALU_DEP_1) | instskip(SKIP_1) | instid1(VALU_DEP_1)
	v_fma_f64 v[21:22], v[0:1], v[228:229], -v[18:19]
	v_mul_f64 v[0:1], v[0:1], v[230:231]
	v_fma_f64 v[23:24], v[2:3], v[228:229], v[0:1]
	ds_load_b128 v[0:3], v4 offset:27648
	s_waitcnt vmcnt(0) lgkmcnt(0)
	v_mul_f64 v[10:11], v[2:3], v[226:227]
	s_delay_alu instid0(VALU_DEP_1)
	v_fma_f64 v[29:30], v[0:1], v[224:225], -v[10:11]
	v_add_co_u32 v10, vcc_lo, 0x7000, v6
	v_add_co_ci_u32_e32 v11, vcc_lo, 0, v7, vcc_lo
	v_mul_f64 v[0:1], v[0:1], v[226:227]
	s_clause 0x2
	global_load_b128 v[188:191], v[10:11], off offset:352
	global_load_b128 v[184:187], v[10:11], off offset:1888
	;; [unrolled: 1-line block ×3, first 2 shown]
	v_add_f64 v[29:30], v[25:26], -v[29:30]
	v_fma_f64 v[31:32], v[2:3], v[224:225], v[0:1]
	ds_load_b128 v[0:3], v4 offset:29184
	v_fma_f64 v[106:107], v[25:26], 2.0, -v[29:30]
	v_add_f64 v[31:32], v[27:28], -v[31:32]
	s_delay_alu instid0(VALU_DEP_1) | instskip(SKIP_2) | instid1(VALU_DEP_1)
	v_fma_f64 v[108:109], v[27:28], 2.0, -v[31:32]
	s_waitcnt vmcnt(2) lgkmcnt(0)
	v_mul_f64 v[18:19], v[2:3], v[190:191]
	v_fma_f64 v[37:38], v[0:1], v[188:189], -v[18:19]
	v_mul_f64 v[0:1], v[0:1], v[190:191]
	s_delay_alu instid0(VALU_DEP_2) | instskip(NEXT) | instid1(VALU_DEP_2)
	v_add_f64 v[37:38], v[33:34], -v[37:38]
	v_fma_f64 v[39:40], v[2:3], v[188:189], v[0:1]
	ds_load_b128 v[0:3], v4 offset:30720
	s_waitcnt vmcnt(1) lgkmcnt(0)
	v_mul_f64 v[18:19], v[2:3], v[186:187]
	v_fma_f64 v[102:103], v[33:34], 2.0, -v[37:38]
	v_add_f64 v[39:40], v[35:36], -v[39:40]
	s_delay_alu instid0(VALU_DEP_3) | instskip(SKIP_1) | instid1(VALU_DEP_3)
	v_fma_f64 v[45:46], v[0:1], v[184:185], -v[18:19]
	v_mul_f64 v[0:1], v[0:1], v[186:187]
	v_fma_f64 v[104:105], v[35:36], 2.0, -v[39:40]
	s_delay_alu instid0(VALU_DEP_3) | instskip(NEXT) | instid1(VALU_DEP_3)
	v_add_f64 v[45:46], v[41:42], -v[45:46]
	v_fma_f64 v[47:48], v[2:3], v[184:185], v[0:1]
	ds_load_b128 v[0:3], v4 offset:32256
	s_waitcnt vmcnt(0) lgkmcnt(0)
	v_mul_f64 v[10:11], v[2:3], v[182:183]
	v_fma_f64 v[85:86], v[41:42], 2.0, -v[45:46]
	v_add_f64 v[47:48], v[43:44], -v[47:48]
	s_delay_alu instid0(VALU_DEP_3)
	v_fma_f64 v[53:54], v[0:1], v[180:181], -v[10:11]
	v_add_co_u32 v10, vcc_lo, 0x8000, v6
	v_add_co_ci_u32_e32 v11, vcc_lo, 0, v7, vcc_lo
	v_mul_f64 v[0:1], v[0:1], v[182:183]
	s_clause 0x2
	global_load_b128 v[176:179], v[10:11], off offset:864
	global_load_b128 v[172:175], v[10:11], off offset:2400
	;; [unrolled: 1-line block ×3, first 2 shown]
	v_fma_f64 v[87:88], v[43:44], 2.0, -v[47:48]
	v_add_f64 v[53:54], v[49:50], -v[53:54]
	v_fma_f64 v[55:56], v[2:3], v[180:181], v[0:1]
	ds_load_b128 v[0:3], v4 offset:33792
	v_fma_f64 v[81:82], v[49:50], 2.0, -v[53:54]
	v_add_f64 v[55:56], v[51:52], -v[55:56]
	s_delay_alu instid0(VALU_DEP_1) | instskip(SKIP_2) | instid1(VALU_DEP_1)
	v_fma_f64 v[83:84], v[51:52], 2.0, -v[55:56]
	s_waitcnt vmcnt(2) lgkmcnt(0)
	v_mul_f64 v[18:19], v[2:3], v[178:179]
	v_fma_f64 v[61:62], v[0:1], v[176:177], -v[18:19]
	v_mul_f64 v[0:1], v[0:1], v[178:179]
	s_delay_alu instid0(VALU_DEP_2) | instskip(NEXT) | instid1(VALU_DEP_2)
	v_add_f64 v[61:62], v[57:58], -v[61:62]
	v_fma_f64 v[63:64], v[2:3], v[176:177], v[0:1]
	ds_load_b128 v[0:3], v4 offset:35328
	s_waitcnt vmcnt(1) lgkmcnt(0)
	v_mul_f64 v[18:19], v[2:3], v[174:175]
	v_fma_f64 v[57:58], v[57:58], 2.0, -v[61:62]
	v_add_f64 v[63:64], v[59:60], -v[63:64]
	s_delay_alu instid0(VALU_DEP_3) | instskip(SKIP_1) | instid1(VALU_DEP_3)
	v_fma_f64 v[89:90], v[0:1], v[172:173], -v[18:19]
	v_mul_f64 v[0:1], v[0:1], v[174:175]
	v_fma_f64 v[59:60], v[59:60], 2.0, -v[63:64]
	s_delay_alu instid0(VALU_DEP_3) | instskip(NEXT) | instid1(VALU_DEP_3)
	v_add_f64 v[90:91], v[65:66], -v[89:90]
	v_fma_f64 v[92:93], v[2:3], v[172:173], v[0:1]
	ds_load_b128 v[0:3], v4 offset:36864
	s_waitcnt vmcnt(0) lgkmcnt(0)
	v_mul_f64 v[10:11], v[2:3], v[170:171]
	v_fma_f64 v[65:66], v[65:66], 2.0, -v[90:91]
	v_add_f64 v[92:93], v[67:68], -v[92:93]
	s_delay_alu instid0(VALU_DEP_3)
	v_fma_f64 v[98:99], v[0:1], v[168:169], -v[10:11]
	v_add_co_u32 v10, vcc_lo, 0x9000, v6
	v_add_co_ci_u32_e32 v11, vcc_lo, 0, v7, vcc_lo
	v_add_co_u32 v5, vcc_lo, 0xa000, v6
	v_add_co_ci_u32_e32 v6, vcc_lo, 0, v7, vcc_lo
	s_clause 0x1
	global_load_b128 v[154:157], v[10:11], off offset:2912
	global_load_b128 v[164:167], v[10:11], off offset:1376
	v_mul_f64 v[0:1], v[0:1], v[170:171]
	s_clause 0x2
	global_load_b128 v[150:153], v[5:6], off offset:352
	global_load_b128 v[146:149], v[5:6], off offset:1888
	;; [unrolled: 1-line block ×3, first 2 shown]
	v_fma_f64 v[67:68], v[67:68], 2.0, -v[92:93]
	v_add_f64 v[98:99], v[94:95], -v[98:99]
	v_fma_f64 v[100:101], v[2:3], v[168:169], v[0:1]
	ds_load_b128 v[0:3], v4 offset:38400
	v_fma_f64 v[94:95], v[94:95], 2.0, -v[98:99]
	v_add_f64 v[100:101], v[96:97], -v[100:101]
	s_delay_alu instid0(VALU_DEP_1) | instskip(SKIP_2) | instid1(VALU_DEP_1)
	v_fma_f64 v[96:97], v[96:97], 2.0, -v[100:101]
	s_waitcnt vmcnt(3) lgkmcnt(0)
	v_mul_f64 v[18:19], v[2:3], v[166:167]
	v_fma_f64 v[122:123], v[0:1], v[164:165], -v[18:19]
	v_mul_f64 v[0:1], v[0:1], v[166:167]
	s_delay_alu instid0(VALU_DEP_1) | instskip(SKIP_3) | instid1(VALU_DEP_1)
	v_fma_f64 v[124:125], v[2:3], v[164:165], v[0:1]
	ds_load_b128 v[0:3], v4 offset:39936
	s_waitcnt lgkmcnt(0)
	v_mul_f64 v[10:11], v[2:3], v[156:157]
	v_fma_f64 v[126:127], v[0:1], v[154:155], -v[10:11]
	v_mul_f64 v[0:1], v[0:1], v[156:157]
	s_delay_alu instid0(VALU_DEP_1) | instskip(SKIP_3) | instid1(VALU_DEP_1)
	v_fma_f64 v[128:129], v[2:3], v[154:155], v[0:1]
	ds_load_b128 v[0:3], v4 offset:41472
	s_waitcnt vmcnt(2) lgkmcnt(0)
	v_mul_f64 v[10:11], v[2:3], v[152:153]
	v_fma_f64 v[130:131], v[0:1], v[150:151], -v[10:11]
	v_mul_f64 v[0:1], v[0:1], v[152:153]
	s_delay_alu instid0(VALU_DEP_1) | instskip(SKIP_3) | instid1(VALU_DEP_1)
	v_fma_f64 v[132:133], v[2:3], v[150:151], v[0:1]
	ds_load_b128 v[0:3], v4 offset:43008
	s_waitcnt vmcnt(1) lgkmcnt(0)
	;; [unrolled: 7-line block ×3, first 2 shown]
	v_mul_f64 v[5:6], v[2:3], v[242:243]
	v_fma_f64 v[5:6], v[0:1], v[240:241], -v[5:6]
	v_mul_f64 v[0:1], v[0:1], v[242:243]
	s_delay_alu instid0(VALU_DEP_1)
	v_fma_f64 v[138:139], v[2:3], v[240:241], v[0:1]
	ds_load_b128 v[0:3], v4
	s_waitcnt lgkmcnt(0)
	v_add_f64 v[77:78], v[0:1], -v[12:13]
	v_add_f64 v[79:80], v[2:3], -v[8:9]
	ds_load_b128 v[9:12], v4 offset:1536
	s_waitcnt lgkmcnt(0)
	v_add_f64 v[75:76], v[11:12], -v[16:17]
	ds_load_b128 v[17:20], v4 offset:3072
	v_add_f64 v[73:74], v[9:10], -v[14:15]
	v_fma_f64 v[118:119], v[0:1], 2.0, -v[77:78]
	v_fma_f64 v[120:121], v[2:3], 2.0, -v[79:80]
	ds_load_b128 v[0:3], v4 offset:15360
	s_waitcnt lgkmcnt(1)
	v_add_f64 v[69:70], v[17:18], -v[21:22]
	v_add_f64 v[71:72], v[19:20], -v[23:24]
	s_waitcnt lgkmcnt(0)
	v_add_f64 v[21:22], v[0:1], -v[122:123]
	v_add_f64 v[23:24], v[2:3], -v[124:125]
	v_fma_f64 v[114:115], v[9:10], 2.0, -v[73:74]
	v_fma_f64 v[116:117], v[11:12], 2.0, -v[75:76]
	;; [unrolled: 1-line block ×6, first 2 shown]
	ds_load_b128 v[0:3], v4 offset:16896
	s_waitcnt lgkmcnt(0)
	v_add_f64 v[17:18], v[0:1], -v[126:127]
	v_add_f64 v[19:20], v[2:3], -v[128:129]
	s_delay_alu instid0(VALU_DEP_2) | instskip(NEXT) | instid1(VALU_DEP_2)
	v_fma_f64 v[41:42], v[0:1], 2.0, -v[17:18]
	v_fma_f64 v[43:44], v[2:3], 2.0, -v[19:20]
	ds_load_b128 v[0:3], v4 offset:18432
	s_waitcnt lgkmcnt(0)
	v_add_f64 v[13:14], v[0:1], -v[130:131]
	v_add_f64 v[15:16], v[2:3], -v[132:133]
	s_delay_alu instid0(VALU_DEP_2) | instskip(NEXT) | instid1(VALU_DEP_2)
	v_fma_f64 v[33:34], v[0:1], 2.0, -v[13:14]
	v_fma_f64 v[35:36], v[2:3], 2.0, -v[15:16]
	;; [unrolled: 7-line block ×4, first 2 shown]
	ds_store_b128 v4, v[77:80] offset:23040
	ds_store_b128 v4, v[73:76] offset:24576
	;; [unrolled: 1-line block ×15, first 2 shown]
	ds_store_b128 v4, v[118:121]
	ds_store_b128 v4, v[114:117] offset:1536
	ds_store_b128 v4, v[110:113] offset:3072
	;; [unrolled: 1-line block ×14, first 2 shown]
	s_waitcnt lgkmcnt(0)
	s_barrier
	buffer_gl0_inv
	global_load_b128 v[5:8], v4, s[14:15]
	ds_load_b128 v[49:52], v4 offset:32256
	ds_load_b128 v[0:3], v4
	ds_load_b128 v[67:70], v4 offset:1536
	ds_load_b128 v[13:16], v4 offset:4608
	;; [unrolled: 1-line block ×17, first 2 shown]
	s_waitcnt vmcnt(0) lgkmcnt(17)
	v_mul_f64 v[9:10], v[2:3], v[7:8]
	v_mul_f64 v[7:8], v[0:1], v[7:8]
	s_delay_alu instid0(VALU_DEP_2) | instskip(NEXT) | instid1(VALU_DEP_2)
	v_fma_f64 v[142:143], v[0:1], v[5:6], -v[9:10]
	v_fma_f64 v[144:145], v[2:3], v[5:6], v[7:8]
	v_add_co_u32 v7, s10, s14, v4
	s_delay_alu instid0(VALU_DEP_1) | instskip(SKIP_1) | instid1(VALU_DEP_2)
	v_add_co_ci_u32_e64 v8, null, s15, 0, s10
	s_mul_i32 s10, s4, 0x2400
	v_add_co_u32 v5, vcc_lo, 0x1000, v7
	s_delay_alu instid0(VALU_DEP_2) | instskip(SKIP_4) | instid1(VALU_DEP_2)
	v_add_co_ci_u32_e32 v6, vcc_lo, 0, v8, vcc_lo
	global_load_b128 v[9:12], v[5:6], off offset:512
	s_waitcnt vmcnt(0) lgkmcnt(15)
	v_mul_f64 v[0:1], v[15:16], v[11:12]
	v_mul_f64 v[2:3], v[13:14], v[11:12]
	v_fma_f64 v[138:139], v[13:14], v[9:10], -v[0:1]
	v_add_co_u32 v0, vcc_lo, 0x2000, v7
	v_add_co_ci_u32_e32 v1, vcc_lo, 0, v8, vcc_lo
	s_delay_alu instid0(VALU_DEP_4) | instskip(SKIP_4) | instid1(VALU_DEP_2)
	v_fma_f64 v[140:141], v[15:16], v[9:10], v[2:3]
	global_load_b128 v[15:18], v[0:1], off offset:1024
	s_waitcnt vmcnt(0) lgkmcnt(13)
	v_mul_f64 v[2:3], v[21:22], v[17:18]
	v_mul_f64 v[9:10], v[19:20], v[17:18]
	v_fma_f64 v[134:135], v[19:20], v[15:16], -v[2:3]
	v_add_co_u32 v2, vcc_lo, 0x3000, v7
	v_add_co_ci_u32_e32 v3, vcc_lo, 0, v8, vcc_lo
	s_delay_alu instid0(VALU_DEP_4) | instskip(SKIP_4) | instid1(VALU_DEP_2)
	v_fma_f64 v[136:137], v[21:22], v[15:16], v[9:10]
	global_load_b128 v[21:24], v[2:3], off offset:1536
	s_waitcnt vmcnt(0) lgkmcnt(11)
	v_mul_f64 v[9:10], v[27:28], v[23:24]
	v_mul_f64 v[11:12], v[25:26], v[23:24]
	v_fma_f64 v[130:131], v[25:26], v[21:22], -v[9:10]
	scratch_load_b32 v9, off, off offset:512 ; 4-byte Folded Reload
	v_fma_f64 v[132:133], v[27:28], v[21:22], v[11:12]
	s_waitcnt vmcnt(0)
	global_load_b128 v[27:30], v9, s[14:15]
	s_waitcnt vmcnt(0) lgkmcnt(9)
	v_mul_f64 v[11:12], v[31:32], v[29:30]
	v_mul_f64 v[9:10], v[33:34], v[29:30]
	s_delay_alu instid0(VALU_DEP_2)
	v_fma_f64 v[128:129], v[33:34], v[27:28], v[11:12]
	v_add_co_u32 v11, vcc_lo, 0x5000, v7
	v_add_co_ci_u32_e32 v12, vcc_lo, 0, v8, vcc_lo
	v_add_co_u32 v25, vcc_lo, 0x6000, v7
	v_add_co_ci_u32_e32 v26, vcc_lo, 0, v8, vcc_lo
	global_load_b128 v[33:36], v[11:12], off offset:2560
	v_fma_f64 v[126:127], v[31:32], v[27:28], -v[9:10]
	s_waitcnt vmcnt(0) lgkmcnt(7)
	v_mul_f64 v[13:14], v[37:38], v[35:36]
	v_mul_f64 v[9:10], v[39:40], v[35:36]
	s_delay_alu instid0(VALU_DEP_2)
	v_fma_f64 v[124:125], v[39:40], v[33:34], v[13:14]
	global_load_b128 v[39:42], v[25:26], off offset:3072
	v_fma_f64 v[122:123], v[37:38], v[33:34], -v[9:10]
	s_waitcnt vmcnt(0) lgkmcnt(5)
	v_mul_f64 v[9:10], v[45:46], v[41:42]
	v_mul_f64 v[13:14], v[43:44], v[41:42]
	s_delay_alu instid0(VALU_DEP_2) | instskip(SKIP_2) | instid1(VALU_DEP_4)
	v_fma_f64 v[41:42], v[43:44], v[39:40], -v[9:10]
	v_add_co_u32 v9, vcc_lo, 0x7000, v7
	v_add_co_ci_u32_e32 v10, vcc_lo, 0, v8, vcc_lo
	v_fma_f64 v[43:44], v[45:46], v[39:40], v[13:14]
	v_add_co_u32 v37, vcc_lo, 0xa000, v7
	global_load_b128 v[45:48], v[9:10], off offset:3584
	v_add_co_ci_u32_e32 v38, vcc_lo, 0, v8, vcc_lo
	s_waitcnt vmcnt(0)
	v_mul_f64 v[13:14], v[51:52], v[47:48]
	v_mul_f64 v[15:16], v[49:50], v[47:48]
	s_delay_alu instid0(VALU_DEP_2)
	v_fma_f64 v[47:48], v[49:50], v[45:46], -v[13:14]
	scratch_load_b32 v13, off, off offset:516 ; 4-byte Folded Reload
	v_fma_f64 v[49:50], v[51:52], v[45:46], v[15:16]
	s_waitcnt vmcnt(0)
	global_load_b128 v[51:54], v13, s[14:15]
	s_waitcnt vmcnt(0) lgkmcnt(3)
	v_mul_f64 v[13:14], v[57:58], v[53:54]
	v_mul_f64 v[15:16], v[55:56], v[53:54]
	s_delay_alu instid0(VALU_DEP_2) | instskip(NEXT) | instid1(VALU_DEP_2)
	v_fma_f64 v[53:54], v[55:56], v[51:52], -v[13:14]
	v_fma_f64 v[55:56], v[57:58], v[51:52], v[15:16]
	global_load_b128 v[57:60], v[37:38], off offset:512
	s_waitcnt vmcnt(0) lgkmcnt(1)
	v_mul_f64 v[13:14], v[63:64], v[59:60]
	v_mul_f64 v[15:16], v[61:62], v[59:60]
	s_delay_alu instid0(VALU_DEP_2) | instskip(NEXT) | instid1(VALU_DEP_2)
	v_fma_f64 v[59:60], v[61:62], v[57:58], -v[13:14]
	v_fma_f64 v[61:62], v[63:64], v[57:58], v[15:16]
	global_load_b128 v[63:66], v4, s[14:15] offset:1536
	s_waitcnt vmcnt(0)
	v_mul_f64 v[13:14], v[69:70], v[65:66]
	v_mul_f64 v[15:16], v[67:68], v[65:66]
	s_delay_alu instid0(VALU_DEP_2)
	v_fma_f64 v[65:66], v[67:68], v[63:64], -v[13:14]
	scratch_load_b32 v13, off, off offset:536 ; 4-byte Folded Reload
	v_fma_f64 v[67:68], v[69:70], v[63:64], v[15:16]
	s_waitcnt vmcnt(0)
	global_load_b128 v[69:72], v13, s[14:15]
	s_waitcnt vmcnt(0)
	v_mul_f64 v[13:14], v[75:76], v[71:72]
	v_mul_f64 v[15:16], v[73:74], v[71:72]
	s_delay_alu instid0(VALU_DEP_2) | instskip(NEXT) | instid1(VALU_DEP_2)
	v_fma_f64 v[71:72], v[73:74], v[69:70], -v[13:14]
	v_fma_f64 v[73:74], v[75:76], v[69:70], v[15:16]
	global_load_b128 v[75:78], v[0:1], off offset:2560
	s_waitcnt vmcnt(0)
	v_mul_f64 v[0:1], v[81:82], v[77:78]
	v_mul_f64 v[13:14], v[79:80], v[77:78]
	s_delay_alu instid0(VALU_DEP_2) | instskip(NEXT) | instid1(VALU_DEP_2)
	v_fma_f64 v[77:78], v[79:80], v[75:76], -v[0:1]
	v_fma_f64 v[79:80], v[81:82], v[75:76], v[13:14]
	global_load_b128 v[81:84], v[2:3], off offset:3072
	v_add_co_u32 v13, vcc_lo, 0x4000, v7
	v_add_co_ci_u32_e32 v14, vcc_lo, 0, v8, vcc_lo
	v_add_co_u32 v39, vcc_lo, 0x8000, v7
	v_add_co_ci_u32_e32 v40, vcc_lo, 0, v8, vcc_lo
	global_load_b128 v[90:93], v[13:14], off offset:3584
	v_add_co_u32 v45, vcc_lo, 0x9000, v7
	v_add_co_ci_u32_e32 v46, vcc_lo, 0, v8, vcc_lo
	s_waitcnt vmcnt(1)
	v_mul_f64 v[0:1], v[87:88], v[83:84]
	v_mul_f64 v[2:3], v[85:86], v[83:84]
	s_delay_alu instid0(VALU_DEP_2) | instskip(SKIP_2) | instid1(VALU_DEP_3)
	v_fma_f64 v[83:84], v[85:86], v[81:82], -v[0:1]
	s_waitcnt vmcnt(0)
	v_mul_f64 v[0:1], v[96:97], v[92:93]
	v_fma_f64 v[85:86], v[87:88], v[81:82], v[2:3]
	v_mul_f64 v[2:3], v[94:95], v[92:93]
	s_delay_alu instid0(VALU_DEP_3)
	v_fma_f64 v[92:93], v[94:95], v[90:91], -v[0:1]
	scratch_load_b32 v0, off, off offset:532 ; 4-byte Folded Reload
	v_fma_f64 v[94:95], v[96:97], v[90:91], v[2:3]
	ds_load_b128 v[87:90], v4 offset:3072
	s_waitcnt vmcnt(0)
	global_load_b128 v[96:99], v0, s[14:15]
	s_waitcnt vmcnt(0)
	v_mul_f64 v[0:1], v[102:103], v[98:99]
	v_mul_f64 v[2:3], v[100:101], v[98:99]
	s_delay_alu instid0(VALU_DEP_2) | instskip(NEXT) | instid1(VALU_DEP_2)
	v_fma_f64 v[98:99], v[100:101], v[96:97], -v[0:1]
	v_fma_f64 v[100:101], v[102:103], v[96:97], v[2:3]
	s_clause 0x1
	global_load_b128 v[102:105], v[9:10], off offset:512
	global_load_b128 v[7:10], v[45:46], off offset:1536
	s_waitcnt vmcnt(1)
	v_mul_f64 v[0:1], v[108:109], v[104:105]
	v_mul_f64 v[2:3], v[106:107], v[104:105]
	s_delay_alu instid0(VALU_DEP_2) | instskip(NEXT) | instid1(VALU_DEP_2)
	v_fma_f64 v[104:105], v[106:107], v[102:103], -v[0:1]
	v_fma_f64 v[106:107], v[108:109], v[102:103], v[2:3]
	global_load_b128 v[108:111], v[39:40], off offset:1024
	s_waitcnt vmcnt(0)
	v_mul_f64 v[0:1], v[114:115], v[110:111]
	v_mul_f64 v[2:3], v[112:113], v[110:111]
	s_delay_alu instid0(VALU_DEP_2) | instskip(NEXT) | instid1(VALU_DEP_2)
	v_fma_f64 v[110:111], v[112:113], v[108:109], -v[0:1]
	v_fma_f64 v[112:113], v[114:115], v[108:109], v[2:3]
	ds_load_b128 v[114:117], v4 offset:38400
	s_waitcnt lgkmcnt(0)
	v_mul_f64 v[0:1], v[116:117], v[9:10]
	v_mul_f64 v[2:3], v[114:115], v[9:10]
	s_delay_alu instid0(VALU_DEP_2)
	v_fma_f64 v[114:115], v[114:115], v[7:8], -v[0:1]
	scratch_load_b32 v0, off, off offset:524 ; 4-byte Folded Reload
	v_fma_f64 v[116:117], v[116:117], v[7:8], v[2:3]
	s_waitcnt vmcnt(0)
	global_load_b128 v[7:10], v0, s[14:15]
	s_waitcnt vmcnt(0)
	v_mul_f64 v[0:1], v[120:121], v[9:10]
	v_mul_f64 v[2:3], v[118:119], v[9:10]
	s_delay_alu instid0(VALU_DEP_2) | instskip(NEXT) | instid1(VALU_DEP_2)
	v_fma_f64 v[118:119], v[118:119], v[7:8], -v[0:1]
	v_fma_f64 v[120:121], v[120:121], v[7:8], v[2:3]
	global_load_b128 v[7:10], v4, s[14:15] offset:3072
	s_waitcnt vmcnt(0)
	v_mul_f64 v[0:1], v[89:90], v[9:10]
	v_mul_f64 v[2:3], v[87:88], v[9:10]
	s_delay_alu instid0(VALU_DEP_2) | instskip(NEXT) | instid1(VALU_DEP_2)
	v_fma_f64 v[87:88], v[87:88], v[7:8], -v[0:1]
	v_fma_f64 v[89:90], v[89:90], v[7:8], v[2:3]
	global_load_b128 v[5:8], v[5:6], off offset:3584
	ds_load_b128 v[0:3], v4 offset:7680
	s_waitcnt vmcnt(0) lgkmcnt(0)
	v_mul_f64 v[9:10], v[2:3], v[7:8]
	v_mul_f64 v[7:8], v[0:1], v[7:8]
	s_delay_alu instid0(VALU_DEP_2)
	v_fma_f64 v[33:34], v[0:1], v[5:6], -v[9:10]
	scratch_load_b32 v0, off, off offset:528 ; 4-byte Folded Reload
	v_fma_f64 v[35:36], v[2:3], v[5:6], v[7:8]
	s_waitcnt vmcnt(0)
	global_load_b128 v[5:8], v0, s[14:15]
	ds_load_b128 v[0:3], v4 offset:12288
	s_waitcnt vmcnt(0) lgkmcnt(0)
	v_mul_f64 v[9:10], v[2:3], v[7:8]
	v_mul_f64 v[7:8], v[0:1], v[7:8]
	s_delay_alu instid0(VALU_DEP_2) | instskip(NEXT) | instid1(VALU_DEP_2)
	v_fma_f64 v[29:30], v[0:1], v[5:6], -v[9:10]
	v_fma_f64 v[31:32], v[2:3], v[5:6], v[7:8]
	global_load_b128 v[5:8], v[13:14], off offset:512
	ds_load_b128 v[13:16], v4 offset:16896
	s_waitcnt vmcnt(0) lgkmcnt(0)
	v_mul_f64 v[0:1], v[15:16], v[7:8]
	v_mul_f64 v[2:3], v[13:14], v[7:8]
	s_delay_alu instid0(VALU_DEP_2) | instskip(NEXT) | instid1(VALU_DEP_2)
	v_fma_f64 v[21:22], v[13:14], v[5:6], -v[0:1]
	v_fma_f64 v[23:24], v[15:16], v[5:6], v[2:3]
	global_load_b128 v[5:8], v[11:12], off offset:1024
	;; [unrolled: 8-line block ×3, first 2 shown]
	ds_load_b128 v[0:3], v4 offset:26112
	ds_load_b128 v[25:28], v4 offset:30720
	s_waitcnt vmcnt(0) lgkmcnt(1)
	v_mul_f64 v[9:10], v[2:3], v[7:8]
	v_mul_f64 v[7:8], v[0:1], v[7:8]
	s_delay_alu instid0(VALU_DEP_2)
	v_fma_f64 v[13:14], v[0:1], v[5:6], -v[9:10]
	scratch_load_b32 v0, off, off offset:520 ; 4-byte Folded Reload
	v_fma_f64 v[15:16], v[2:3], v[5:6], v[7:8]
	s_waitcnt vmcnt(0)
	global_load_b128 v[5:8], v0, s[14:15]
	s_waitcnt vmcnt(0) lgkmcnt(0)
	v_mul_f64 v[0:1], v[27:28], v[7:8]
	v_mul_f64 v[2:3], v[25:26], v[7:8]
	s_delay_alu instid0(VALU_DEP_2) | instskip(NEXT) | instid1(VALU_DEP_2)
	v_fma_f64 v[25:26], v[25:26], v[5:6], -v[0:1]
	v_fma_f64 v[27:28], v[27:28], v[5:6], v[2:3]
	global_load_b128 v[5:8], v[39:40], off offset:2560
	ds_load_b128 v[0:3], v4 offset:35328
	s_waitcnt vmcnt(0) lgkmcnt(0)
	v_mul_f64 v[9:10], v[2:3], v[7:8]
	v_mul_f64 v[7:8], v[0:1], v[7:8]
	s_delay_alu instid0(VALU_DEP_2) | instskip(NEXT) | instid1(VALU_DEP_2)
	v_fma_f64 v[9:10], v[0:1], v[5:6], -v[9:10]
	v_fma_f64 v[11:12], v[2:3], v[5:6], v[7:8]
	global_load_b128 v[5:8], v[45:46], off offset:3072
	ds_load_b128 v[0:3], v4 offset:39936
	;; [unrolled: 8-line block ×3, first 2 shown]
	s_waitcnt vmcnt(0) lgkmcnt(0)
	v_mul_f64 v[45:46], v[39:40], v[7:8]
	v_mul_f64 v[7:8], v[37:38], v[7:8]
	s_delay_alu instid0(VALU_DEP_2) | instskip(NEXT) | instid1(VALU_DEP_2)
	v_fma_f64 v[37:38], v[37:38], v[5:6], -v[45:46]
	v_fma_f64 v[39:40], v[39:40], v[5:6], v[7:8]
	ds_store_b128 v4, v[142:145]
	ds_store_b128 v4, v[138:141] offset:4608
	ds_store_b128 v4, v[134:137] offset:9216
	;; [unrolled: 1-line block ×29, first 2 shown]
	s_waitcnt lgkmcnt(0)
	s_barrier
	buffer_gl0_inv
	ds_load_b128 v[0:3], v4 offset:9216
	ds_load_b128 v[5:8], v4
	ds_load_b128 v[9:12], v4 offset:18432
	s_waitcnt lgkmcnt(1)
	v_add_f64 v[13:14], v[5:6], v[0:1]
	s_waitcnt lgkmcnt(0)
	v_add_f64 v[25:26], v[0:1], -v[9:10]
	v_add_f64 v[27:28], v[9:10], -v[0:1]
	;; [unrolled: 1-line block ×4, first 2 shown]
	v_add_f64 v[17:18], v[13:14], v[9:10]
	v_add_f64 v[13:14], v[7:8], v[2:3]
	s_delay_alu instid0(VALU_DEP_1)
	v_add_f64 v[19:20], v[13:14], v[11:12]
	ds_load_b128 v[13:16], v4 offset:27648
	s_waitcnt lgkmcnt(0)
	v_add_f64 v[21:22], v[9:10], v[13:14]
	v_add_f64 v[23:24], v[11:12], -v[15:16]
	v_add_f64 v[29:30], v[11:12], v[15:16]
	v_add_f64 v[31:32], v[9:10], -v[13:14]
	ds_load_b128 v[9:12], v4 offset:36864
	s_waitcnt lgkmcnt(0)
	v_add_f64 v[37:38], v[2:3], -v[11:12]
	v_add_f64 v[39:40], v[0:1], v[9:10]
	v_add_f64 v[56:57], v[0:1], -v[9:10]
	v_add_f64 v[41:42], v[2:3], v[11:12]
	v_add_f64 v[0:1], v[17:18], v[13:14]
	;; [unrolled: 1-line block ×3, first 2 shown]
	v_add_f64 v[43:44], v[9:10], -v[13:14]
	v_add_f64 v[58:59], v[13:14], -v[9:10]
	;; [unrolled: 1-line block ×4, first 2 shown]
	v_fma_f64 v[21:22], v[21:22], -0.5, v[5:6]
	v_fma_f64 v[29:30], v[29:30], -0.5, v[7:8]
	;; [unrolled: 1-line block ×4, first 2 shown]
	v_add_f64 v[47:48], v[0:1], v[9:10]
	v_add_f64 v[50:51], v[2:3], v[11:12]
	ds_load_b128 v[0:3], v4 offset:13824
	ds_load_b128 v[9:12], v4 offset:4608
	;; [unrolled: 1-line block ×3, first 2 shown]
	v_add_f64 v[27:28], v[27:28], v[58:59]
	s_waitcnt lgkmcnt(1)
	v_add_f64 v[17:18], v[9:10], v[0:1]
	s_waitcnt lgkmcnt(0)
	v_add_f64 v[64:65], v[0:1], -v[13:14]
	v_add_f64 v[66:67], v[13:14], -v[0:1]
	;; [unrolled: 1-line block ×4, first 2 shown]
	v_add_f64 v[52:53], v[17:18], v[13:14]
	v_add_f64 v[17:18], v[11:12], v[2:3]
	s_delay_alu instid0(VALU_DEP_1)
	v_add_f64 v[54:55], v[17:18], v[15:16]
	ds_load_b128 v[17:20], v4 offset:32256
	s_waitcnt lgkmcnt(0)
	v_add_f64 v[68:69], v[15:16], v[19:20]
	v_add_f64 v[52:53], v[52:53], v[17:18]
	v_add_f64 v[62:63], v[13:14], v[17:18]
	v_add_f64 v[76:77], v[15:16], -v[19:20]
	v_add_f64 v[78:79], v[13:14], -v[17:18]
	ds_load_b128 v[13:16], v4 offset:41472
	v_add_f64 v[54:55], v[54:55], v[19:20]
	s_waitcnt lgkmcnt(0)
	v_add_f64 v[74:75], v[0:1], v[13:14]
	v_add_f64 v[0:1], v[0:1], -v[13:14]
	v_add_f64 v[82:83], v[13:14], -v[17:18]
	;; [unrolled: 1-line block ×4, first 2 shown]
	v_add_f64 v[2:3], v[2:3], v[15:16]
	v_add_f64 v[84:85], v[15:16], -v[19:20]
	v_add_f64 v[19:20], v[19:20], -v[15:16]
	v_fma_f64 v[86:87], v[68:69], -0.5, v[11:12]
	v_add_f64 v[13:14], v[52:53], v[13:14]
	v_fma_f64 v[88:89], v[62:63], -0.5, v[9:10]
	v_add_f64 v[15:16], v[54:55], v[15:16]
	;; [unrolled: 2-line block ×4, first 2 shown]
	v_add_f64 v[25:26], v[70:71], v[84:85]
	v_add_f64 v[19:20], v[72:73], v[19:20]
	;; [unrolled: 1-line block ×3, first 2 shown]
	v_add_f64 v[48:49], v[47:48], -v[13:14]
	v_add_f64 v[13:14], v[33:34], v[45:46]
	v_fma_f64 v[33:34], v[0:1], s[20:21], v[86:87]
	v_fma_f64 v[39:40], v[80:81], s[22:23], v[88:89]
	v_add_f64 v[54:55], v[50:51], v[15:16]
	v_add_f64 v[50:51], v[50:51], -v[15:16]
	v_add_f64 v[15:16], v[64:65], v[82:83]
	v_fma_f64 v[58:59], v[76:77], s[20:21], v[9:10]
	v_fma_f64 v[9:10], v[76:77], s[22:23], v[9:10]
	v_fma_f64 v[33:34], v[78:79], s[12:13], v[33:34]
	v_fma_f64 v[39:40], v[76:77], s[18:19], v[39:40]
	s_delay_alu instid0(VALU_DEP_4) | instskip(NEXT) | instid1(VALU_DEP_4)
	v_fma_f64 v[58:59], v[80:81], s[18:19], v[58:59]
	v_fma_f64 v[9:10], v[80:81], s[12:13], v[9:10]
	s_delay_alu instid0(VALU_DEP_4) | instskip(NEXT) | instid1(VALU_DEP_4)
	v_fma_f64 v[33:34], v[25:26], s[16:17], v[33:34]
	v_fma_f64 v[39:40], v[15:16], s[16:17], v[39:40]
	;; [unrolled: 3-line block ×3, first 2 shown]
	s_delay_alu instid0(VALU_DEP_4) | instskip(NEXT) | instid1(VALU_DEP_1)
	v_mul_f64 v[41:42], v[33:34], s[18:19]
	v_fma_f64 v[44:45], v[39:40], s[24:25], v[41:42]
	v_mul_f64 v[39:40], v[39:40], s[12:13]
	v_fma_f64 v[41:42], v[56:57], s[20:21], v[29:30]
	s_delay_alu instid0(VALU_DEP_2) | instskip(SKIP_1) | instid1(VALU_DEP_3)
	v_fma_f64 v[33:34], v[33:34], s[24:25], v[39:40]
	v_fma_f64 v[39:40], v[37:38], s[22:23], v[21:22]
	;; [unrolled: 1-line block ×3, first 2 shown]
	s_delay_alu instid0(VALU_DEP_2) | instskip(NEXT) | instid1(VALU_DEP_2)
	v_fma_f64 v[39:40], v[23:24], s[18:19], v[39:40]
	v_fma_f64 v[62:63], v[13:14], s[16:17], v[41:42]
	s_delay_alu instid0(VALU_DEP_2) | instskip(NEXT) | instid1(VALU_DEP_2)
	v_fma_f64 v[46:47], v[11:12], s[16:17], v[39:40]
	v_add_f64 v[42:43], v[62:63], v[33:34]
	s_delay_alu instid0(VALU_DEP_2)
	v_add_f64 v[40:41], v[46:47], v[44:45]
	v_add_f64 v[44:45], v[46:47], -v[44:45]
	v_add_f64 v[46:47], v[62:63], -v[33:34]
	v_add_f64 v[33:34], v[35:36], v[60:61]
	v_fma_f64 v[35:36], v[78:79], s[22:23], v[2:3]
	v_fma_f64 v[2:3], v[78:79], s[20:21], v[2:3]
	s_delay_alu instid0(VALU_DEP_2) | instskip(NEXT) | instid1(VALU_DEP_2)
	v_fma_f64 v[35:36], v[0:1], s[12:13], v[35:36]
	v_fma_f64 v[2:3], v[0:1], s[18:19], v[2:3]
	;; [unrolled: 1-line block ×3, first 2 shown]
	s_delay_alu instid0(VALU_DEP_3) | instskip(NEXT) | instid1(VALU_DEP_3)
	v_fma_f64 v[35:36], v[19:20], s[16:17], v[35:36]
	v_fma_f64 v[2:3], v[19:20], s[16:17], v[2:3]
	s_delay_alu instid0(VALU_DEP_3) | instskip(NEXT) | instid1(VALU_DEP_3)
	v_fma_f64 v[0:1], v[78:79], s[18:19], v[0:1]
	v_mul_f64 v[60:61], v[35:36], s[22:23]
	v_mul_f64 v[35:36], v[35:36], s[16:17]
	s_delay_alu instid0(VALU_DEP_4)
	v_mul_f64 v[17:18], v[2:3], s[22:23]
	v_mul_f64 v[2:3], v[2:3], s[26:27]
	v_fma_f64 v[0:1], v[25:26], s[16:17], v[0:1]
	v_fma_f64 v[64:65], v[58:59], s[16:17], v[60:61]
	;; [unrolled: 1-line block ×9, first 2 shown]
	v_mul_f64 v[9:10], v[0:1], s[18:19]
	v_mul_f64 v[0:1], v[0:1], s[28:29]
	v_fma_f64 v[60:61], v[56:57], s[12:13], v[60:61]
	v_fma_f64 v[7:8], v[56:57], s[18:19], v[7:8]
	;; [unrolled: 1-line block ×4, first 2 shown]
	s_delay_alu instid0(VALU_DEP_4) | instskip(NEXT) | instid1(VALU_DEP_4)
	v_fma_f64 v[66:67], v[33:34], s[16:17], v[60:61]
	v_fma_f64 v[7:8], v[33:34], s[16:17], v[7:8]
	s_delay_alu instid0(VALU_DEP_4) | instskip(NEXT) | instid1(VALU_DEP_4)
	v_fma_f64 v[58:59], v[27:28], s[16:17], v[58:59]
	v_fma_f64 v[5:6], v[27:28], s[16:17], v[5:6]
	s_delay_alu instid0(VALU_DEP_4) | instskip(NEXT) | instid1(VALU_DEP_4)
	v_add_f64 v[62:63], v[66:67], v[35:36]
	v_add_f64 v[70:71], v[7:8], v[2:3]
	v_add_f64 v[74:75], v[7:8], -v[2:3]
	v_fma_f64 v[7:8], v[80:81], s[20:21], v[88:89]
	v_add_f64 v[68:69], v[5:6], v[17:18]
	v_add_f64 v[72:73], v[5:6], -v[17:18]
	v_fma_f64 v[2:3], v[37:38], s[20:21], v[21:22]
	v_fma_f64 v[5:6], v[56:57], s[22:23], v[29:30]
	v_add_f64 v[60:61], v[58:59], v[64:65]
	v_add_f64 v[64:65], v[58:59], -v[64:65]
	v_add_f64 v[66:67], v[66:67], -v[35:36]
	v_fma_f64 v[7:8], v[76:77], s[12:13], v[7:8]
	v_fma_f64 v[2:3], v[23:24], s[12:13], v[2:3]
	;; [unrolled: 1-line block ×3, first 2 shown]
	s_delay_alu instid0(VALU_DEP_3) | instskip(NEXT) | instid1(VALU_DEP_3)
	v_fma_f64 v[7:8], v[15:16], s[16:17], v[7:8]
	v_fma_f64 v[2:3], v[11:12], s[16:17], v[2:3]
	s_delay_alu instid0(VALU_DEP_3) | instskip(NEXT) | instid1(VALU_DEP_3)
	v_fma_f64 v[5:6], v[13:14], s[16:17], v[5:6]
	v_fma_f64 v[9:10], v[7:8], s[28:29], v[9:10]
	;; [unrolled: 1-line block ×3, first 2 shown]
	s_delay_alu instid0(VALU_DEP_2) | instskip(NEXT) | instid1(VALU_DEP_2)
	v_add_f64 v[76:77], v[2:3], v[9:10]
	v_add_f64 v[78:79], v[5:6], v[0:1]
	v_add_f64 v[80:81], v[2:3], -v[9:10]
	v_add_f64 v[82:83], v[5:6], -v[0:1]
	ds_load_b128 v[84:87], v4 offset:1536
	ds_load_b128 v[88:91], v4 offset:10752
	;; [unrolled: 1-line block ×20, first 2 shown]
	s_waitcnt lgkmcnt(0)
	s_barrier
	buffer_gl0_inv
	ds_store_b128 v161, v[52:55]
	ds_store_b128 v161, v[48:51] offset:80
	ds_store_b128 v161, v[40:43] offset:16
	;; [unrolled: 1-line block ×9, first 2 shown]
	v_add_f64 v[40:41], v[86:87], v[90:91]
	v_add_f64 v[5:6], v[84:85], v[88:89]
	v_add_f64 v[76:77], v[94:95], -v[98:99]
	v_add_f64 v[44:45], v[94:95], v[98:99]
	v_add_f64 v[50:51], v[90:91], -v[94:95]
	v_add_f64 v[62:63], v[94:95], -v[90:91]
	v_add_f64 v[72:73], v[106:107], v[110:111]
	v_add_f64 v[42:43], v[92:93], v[96:97]
	v_add_f64 v[48:49], v[88:89], -v[92:93]
	v_add_f64 v[60:61], v[92:93], -v[88:89]
	;; [unrolled: 1-line block ×4, first 2 shown]
	v_add_f64 v[46:47], v[88:89], v[100:101]
	v_add_f64 v[82:83], v[88:89], -v[100:101]
	v_add_f64 v[52:53], v[90:91], v[102:103]
	v_add_f64 v[54:55], v[100:101], -v[96:97]
	v_add_f64 v[64:65], v[96:97], -v[100:101]
	;; [unrolled: 1-line block ×4, first 2 shown]
	v_add_f64 v[74:75], v[112:113], v[116:117]
	v_add_f64 v[88:89], v[114:115], -v[118:119]
	v_add_f64 v[90:91], v[108:109], -v[112:113]
	;; [unrolled: 1-line block ×3, first 2 shown]
	v_add_f64 v[40:41], v[40:41], v[94:95]
	v_add_f64 v[5:6], v[5:6], v[92:93]
	;; [unrolled: 1-line block ×3, first 2 shown]
	v_add_f64 v[92:93], v[112:113], -v[108:109]
	v_fma_f64 v[126:127], v[44:45], -0.5, v[86:87]
	v_add_f64 v[72:73], v[72:73], v[114:115]
	v_fma_f64 v[86:87], v[52:53], -0.5, v[86:87]
	v_add_f64 v[68:69], v[62:63], v[68:69]
	;; [unrolled: 2-line block ×3, first 2 shown]
	v_add_f64 v[5:6], v[5:6], v[96:97]
	v_add_f64 v[96:97], v[112:113], -v[116:117]
	v_add_f64 v[98:99], v[110:111], -v[114:115]
	v_fma_f64 v[94:95], v[94:95], -0.5, v[106:107]
	v_add_f64 v[72:73], v[72:73], v[118:119]
	v_add_f64 v[118:119], v[118:119], -v[122:123]
	v_add_f64 v[70:71], v[40:41], v[102:103]
	v_add_f64 v[40:41], v[104:105], v[108:109]
	;; [unrolled: 1-line block ×3, first 2 shown]
	v_add_f64 v[100:101], v[114:115], -v[110:111]
	v_add_f64 v[114:115], v[120:121], -v[116:117]
	;; [unrolled: 1-line block ×3, first 2 shown]
	v_add_f64 v[110:111], v[110:111], v[122:123]
	v_add_f64 v[98:99], v[98:99], v[124:125]
	;; [unrolled: 1-line block ×3, first 2 shown]
	v_fma_f64 v[122:123], v[42:43], -0.5, v[84:85]
	v_fma_f64 v[84:85], v[46:47], -0.5, v[84:85]
	v_add_f64 v[40:41], v[40:41], v[112:113]
	v_add_f64 v[112:113], v[108:109], v[120:121]
	v_add_f64 v[108:109], v[108:109], -v[120:121]
	v_add_f64 v[90:91], v[90:91], v[114:115]
	v_add_f64 v[42:43], v[70:71], v[72:73]
	v_add_f64 v[46:47], v[70:71], -v[72:73]
	v_add_f64 v[40:41], v[40:41], v[116:117]
	v_add_f64 v[116:117], v[116:117], -v[120:121]
	v_fma_f64 v[74:75], v[112:113], -0.5, v[104:105]
	v_fma_f64 v[104:105], v[110:111], -0.5, v[106:107]
	v_add_f64 v[106:107], v[50:51], v[66:67]
	v_fma_f64 v[50:51], v[102:103], s[22:23], v[128:129]
	v_add_f64 v[120:121], v[40:41], v[120:121]
	v_add_f64 v[72:73], v[92:93], v[116:117]
	;; [unrolled: 1-line block ×3, first 2 shown]
	v_fma_f64 v[62:63], v[88:89], s[20:21], v[74:75]
	v_fma_f64 v[50:51], v[88:89], s[18:19], v[50:51]
	v_add_f64 v[40:41], v[5:6], v[120:121]
	v_add_f64 v[44:45], v[5:6], -v[120:121]
	v_add_f64 v[5:6], v[48:49], v[54:55]
	v_fma_f64 v[48:49], v[108:109], s[20:21], v[94:95]
	v_fma_f64 v[62:63], v[102:103], s[18:19], v[62:63]
	;; [unrolled: 1-line block ×3, first 2 shown]
	s_delay_alu instid0(VALU_DEP_3) | instskip(NEXT) | instid1(VALU_DEP_3)
	v_fma_f64 v[48:49], v[96:97], s[12:13], v[48:49]
	v_fma_f64 v[62:63], v[72:73], s[16:17], v[62:63]
	s_delay_alu instid0(VALU_DEP_2) | instskip(NEXT) | instid1(VALU_DEP_1)
	v_fma_f64 v[48:49], v[98:99], s[16:17], v[48:49]
	v_mul_f64 v[52:53], v[48:49], s[18:19]
	s_delay_alu instid0(VALU_DEP_1) | instskip(SKIP_1) | instid1(VALU_DEP_1)
	v_fma_f64 v[52:53], v[50:51], s[24:25], v[52:53]
	v_mul_f64 v[50:51], v[50:51], s[12:13]
	v_fma_f64 v[54:55], v[48:49], s[24:25], v[50:51]
	v_fma_f64 v[50:51], v[82:83], s[20:21], v[126:127]
	;; [unrolled: 1-line block ×3, first 2 shown]
	s_delay_alu instid0(VALU_DEP_2) | instskip(NEXT) | instid1(VALU_DEP_2)
	v_fma_f64 v[50:51], v[78:79], s[12:13], v[50:51]
	v_fma_f64 v[48:49], v[76:77], s[18:19], v[48:49]
	s_delay_alu instid0(VALU_DEP_2) | instskip(NEXT) | instid1(VALU_DEP_2)
	v_fma_f64 v[70:71], v[106:107], s[16:17], v[50:51]
	v_fma_f64 v[66:67], v[5:6], s[16:17], v[48:49]
	s_delay_alu instid0(VALU_DEP_2)
	v_add_f64 v[50:51], v[70:71], v[54:55]
	v_add_f64 v[54:55], v[70:71], -v[54:55]
	v_add_f64 v[70:71], v[60:61], v[64:65]
	v_fma_f64 v[60:61], v[96:97], s[22:23], v[104:105]
	v_add_f64 v[48:49], v[66:67], v[52:53]
	v_add_f64 v[52:53], v[66:67], -v[52:53]
	s_delay_alu instid0(VALU_DEP_3) | instskip(NEXT) | instid1(VALU_DEP_1)
	v_fma_f64 v[60:61], v[108:109], s[12:13], v[60:61]
	v_fma_f64 v[60:61], v[92:93], s[16:17], v[60:61]
	s_delay_alu instid0(VALU_DEP_1) | instskip(SKIP_1) | instid1(VALU_DEP_2)
	v_mul_f64 v[64:65], v[60:61], s[22:23]
	v_mul_f64 v[60:61], v[60:61], s[16:17]
	v_fma_f64 v[64:65], v[62:63], s[16:17], v[64:65]
	s_delay_alu instid0(VALU_DEP_2) | instskip(SKIP_3) | instid1(VALU_DEP_3)
	v_fma_f64 v[66:67], v[62:63], s[20:21], v[60:61]
	v_fma_f64 v[60:61], v[76:77], s[20:21], v[84:85]
	;; [unrolled: 1-line block ×5, first 2 shown]
	s_delay_alu instid0(VALU_DEP_3) | instskip(NEXT) | instid1(VALU_DEP_3)
	v_fma_f64 v[84:85], v[80:81], s[12:13], v[84:85]
	v_fma_f64 v[62:63], v[82:83], s[12:13], v[62:63]
	;; [unrolled: 1-line block ×3, first 2 shown]
	s_delay_alu instid0(VALU_DEP_4) | instskip(NEXT) | instid1(VALU_DEP_4)
	v_fma_f64 v[100:101], v[70:71], s[16:17], v[60:61]
	v_fma_f64 v[84:85], v[70:71], s[16:17], v[84:85]
	;; [unrolled: 1-line block ×5, first 2 shown]
	v_add_f64 v[60:61], v[100:101], v[64:65]
	v_add_f64 v[64:65], v[100:101], -v[64:65]
	v_fma_f64 v[70:71], v[82:83], s[18:19], v[70:71]
	v_fma_f64 v[82:83], v[82:83], s[22:23], v[126:127]
	;; [unrolled: 1-line block ×3, first 2 shown]
	v_add_f64 v[62:63], v[110:111], v[66:67]
	v_add_f64 v[66:67], v[110:111], -v[66:67]
	v_fma_f64 v[86:87], v[68:69], s[16:17], v[70:71]
	v_fma_f64 v[68:69], v[96:97], s[20:21], v[104:105]
	;; [unrolled: 1-line block ×4, first 2 shown]
	s_delay_alu instid0(VALU_DEP_3) | instskip(NEXT) | instid1(VALU_DEP_3)
	v_fma_f64 v[68:69], v[108:109], s[18:19], v[68:69]
	v_fma_f64 v[70:71], v[102:103], s[12:13], v[70:71]
	s_delay_alu instid0(VALU_DEP_2) | instskip(NEXT) | instid1(VALU_DEP_2)
	v_fma_f64 v[68:69], v[92:93], s[16:17], v[68:69]
	v_fma_f64 v[70:71], v[72:73], s[16:17], v[70:71]
	s_delay_alu instid0(VALU_DEP_2) | instskip(SKIP_1) | instid1(VALU_DEP_2)
	v_mul_f64 v[72:73], v[68:69], s[22:23]
	v_mul_f64 v[68:69], v[68:69], s[26:27]
	v_fma_f64 v[72:73], v[70:71], s[26:27], v[72:73]
	s_delay_alu instid0(VALU_DEP_2) | instskip(NEXT) | instid1(VALU_DEP_2)
	v_fma_f64 v[74:75], v[70:71], s[20:21], v[68:69]
	v_add_f64 v[68:69], v[84:85], v[72:73]
	v_add_f64 v[72:73], v[84:85], -v[72:73]
	v_fma_f64 v[84:85], v[108:109], s[22:23], v[94:95]
	s_delay_alu instid0(VALU_DEP_4) | instskip(SKIP_2) | instid1(VALU_DEP_4)
	v_add_f64 v[70:71], v[86:87], v[74:75]
	v_add_f64 v[74:75], v[86:87], -v[74:75]
	v_fma_f64 v[86:87], v[102:103], s[20:21], v[128:129]
	v_fma_f64 v[84:85], v[96:97], s[18:19], v[84:85]
	s_delay_alu instid0(VALU_DEP_2) | instskip(NEXT) | instid1(VALU_DEP_2)
	v_fma_f64 v[80:81], v[88:89], s[12:13], v[86:87]
	v_fma_f64 v[82:83], v[98:99], s[16:17], v[84:85]
	;; [unrolled: 1-line block ×3, first 2 shown]
	s_delay_alu instid0(VALU_DEP_3) | instskip(NEXT) | instid1(VALU_DEP_3)
	v_fma_f64 v[76:77], v[90:91], s[16:17], v[80:81]
	v_mul_f64 v[78:79], v[82:83], s[18:19]
	v_mul_f64 v[80:81], v[82:83], s[28:29]
	s_delay_alu instid0(VALU_DEP_2) | instskip(NEXT) | instid1(VALU_DEP_2)
	v_fma_f64 v[82:83], v[76:77], s[28:29], v[78:79]
	v_fma_f64 v[86:87], v[76:77], s[12:13], v[80:81]
	s_delay_alu instid0(VALU_DEP_2) | instskip(SKIP_2) | instid1(VALU_DEP_4)
	v_add_f64 v[76:77], v[5:6], v[82:83]
	v_add_f64 v[80:81], v[5:6], -v[82:83]
	v_add_f64 v[5:6], v[36:37], v[56:57]
	v_add_f64 v[78:79], v[84:85], v[86:87]
	v_add_f64 v[82:83], v[84:85], -v[86:87]
	ds_store_b128 v163, v[40:43]
	ds_store_b128 v163, v[48:51] offset:16
	ds_store_b128 v163, v[60:63] offset:32
	;; [unrolled: 1-line block ×9, first 2 shown]
	v_add_f64 v[40:41], v[38:39], v[58:59]
	v_add_f64 v[42:43], v[0:1], v[8:9]
	;; [unrolled: 1-line block ×3, first 2 shown]
	v_add_f64 v[44:45], v[2:3], -v[10:11]
	v_add_f64 v[46:47], v[56:57], -v[0:1]
	v_add_f64 v[48:49], v[0:1], -v[56:57]
	v_add_f64 v[50:51], v[2:3], v[10:11]
	v_add_f64 v[52:53], v[0:1], -v[8:9]
	v_add_f64 v[54:55], v[58:59], -v[2:3]
	v_add_f64 v[60:61], v[2:3], -v[58:59]
	v_add_f64 v[62:63], v[58:59], -v[14:15]
	v_add_f64 v[0:1], v[56:57], v[12:13]
	v_add_f64 v[56:57], v[56:57], -v[12:13]
	;; [unrolled: 5-line block ×4, first 2 shown]
	v_add_f64 v[84:85], v[30:31], -v[26:27]
	v_add_f64 v[40:41], v[40:41], v[2:3]
	v_add_f64 v[2:3], v[58:59], v[14:15]
	;; [unrolled: 1-line block ×3, first 2 shown]
	v_add_f64 v[58:59], v[12:13], -v[8:9]
	v_fma_f64 v[42:43], v[42:43], -0.5, v[36:37]
	v_add_f64 v[48:49], v[48:49], v[64:65]
	v_add_f64 v[54:55], v[54:55], v[66:67]
	;; [unrolled: 1-line block ×12, first 2 shown]
	v_add_f64 v[40:41], v[18:19], -v[26:27]
	v_add_f64 v[15:16], v[22:23], -v[18:19]
	;; [unrolled: 1-line block ×3, first 2 shown]
	v_add_f64 v[19:20], v[22:23], v[30:31]
	v_add_f64 v[21:22], v[28:29], -v[24:25]
	v_add_f64 v[9:10], v[9:10], v[24:25]
	v_add_f64 v[23:24], v[24:25], -v[28:29]
	v_add_f64 v[11:12], v[11:12], v[26:27]
	v_add_f64 v[25:26], v[26:27], -v[30:31]
	v_add_f64 v[66:67], v[15:16], v[84:85]
	v_add_f64 v[58:59], v[70:71], v[21:22]
	;; [unrolled: 1-line block ×3, first 2 shown]
	v_fma_f64 v[27:28], v[0:1], -0.5, v[36:37]
	v_add_f64 v[11:12], v[11:12], v[30:31]
	v_fma_f64 v[36:37], v[50:51], -0.5, v[38:39]
	v_fma_f64 v[29:30], v[2:3], -0.5, v[38:39]
	;; [unrolled: 1-line block ×6, first 2 shown]
	v_add_f64 v[25:26], v[17:18], v[25:26]
	v_add_f64 v[64:65], v[72:73], v[23:24]
	;; [unrolled: 1-line block ×3, first 2 shown]
	v_add_f64 v[5:6], v[5:6], -v[9:10]
	v_add_f64 v[2:3], v[7:8], v[11:12]
	v_add_f64 v[7:8], v[7:8], -v[11:12]
	v_fma_f64 v[9:10], v[82:83], s[20:21], v[38:39]
	v_fma_f64 v[11:12], v[78:79], s[22:23], v[50:51]
	;; [unrolled: 1-line block ×3, first 2 shown]
	s_delay_alu instid0(VALU_DEP_3) | instskip(NEXT) | instid1(VALU_DEP_3)
	v_fma_f64 v[9:10], v[76:77], s[12:13], v[9:10]
	v_fma_f64 v[11:12], v[40:41], s[18:19], v[11:12]
	s_delay_alu instid0(VALU_DEP_3) | instskip(NEXT) | instid1(VALU_DEP_3)
	v_fma_f64 v[17:18], v[82:83], s[12:13], v[17:18]
	v_fma_f64 v[9:10], v[66:67], s[16:17], v[9:10]
	;; [unrolled: 3-line block ×3, first 2 shown]
	s_delay_alu instid0(VALU_DEP_3) | instskip(NEXT) | instid1(VALU_DEP_1)
	v_mul_f64 v[13:14], v[9:10], s[18:19]
	v_fma_f64 v[13:14], v[11:12], s[24:25], v[13:14]
	v_mul_f64 v[11:12], v[11:12], s[12:13]
	s_delay_alu instid0(VALU_DEP_1) | instskip(SKIP_3) | instid1(VALU_DEP_3)
	v_fma_f64 v[15:16], v[9:10], s[24:25], v[11:12]
	v_fma_f64 v[9:10], v[62:63], s[22:23], v[42:43]
	;; [unrolled: 1-line block ×5, first 2 shown]
	s_delay_alu instid0(VALU_DEP_3) | instskip(NEXT) | instid1(VALU_DEP_3)
	v_fma_f64 v[11:12], v[52:53], s[12:13], v[11:12]
	v_fma_f64 v[35:36], v[52:53], s[18:19], v[35:36]
	s_delay_alu instid0(VALU_DEP_3) | instskip(NEXT) | instid1(VALU_DEP_3)
	v_fma_f64 v[19:20], v[46:47], s[16:17], v[9:10]
	v_fma_f64 v[21:22], v[54:55], s[16:17], v[11:12]
	s_delay_alu instid0(VALU_DEP_2) | instskip(SKIP_2) | instid1(VALU_DEP_4)
	v_add_f64 v[9:10], v[19:20], v[13:14]
	v_add_f64 v[13:14], v[19:20], -v[13:14]
	v_fma_f64 v[19:20], v[40:41], s[20:21], v[31:32]
	v_add_f64 v[11:12], v[21:22], v[15:16]
	v_add_f64 v[15:16], v[21:22], -v[15:16]
	v_mul_f64 v[21:22], v[17:18], s[22:23]
	v_mul_f64 v[17:18], v[17:18], s[16:17]
	v_fma_f64 v[19:20], v[78:79], s[18:19], v[19:20]
	s_delay_alu instid0(VALU_DEP_1) | instskip(NEXT) | instid1(VALU_DEP_1)
	v_fma_f64 v[19:20], v[64:65], s[16:17], v[19:20]
	v_fma_f64 v[23:24], v[19:20], s[20:21], v[17:18]
	;; [unrolled: 1-line block ×6, first 2 shown]
	s_delay_alu instid0(VALU_DEP_4) | instskip(NEXT) | instid1(VALU_DEP_4)
	v_fma_f64 v[17:18], v[62:63], s[18:19], v[17:18]
	v_fma_f64 v[27:28], v[62:63], s[12:13], v[27:28]
	s_delay_alu instid0(VALU_DEP_3) | instskip(NEXT) | instid1(VALU_DEP_3)
	v_fma_f64 v[19:20], v[56:57], s[12:13], v[19:20]
	v_fma_f64 v[68:69], v[48:49], s[16:17], v[17:18]
	s_delay_alu instid0(VALU_DEP_3) | instskip(SKIP_1) | instid1(VALU_DEP_4)
	v_fma_f64 v[48:49], v[48:49], s[16:17], v[27:28]
	v_fma_f64 v[27:28], v[52:53], s[20:21], v[29:30]
	;; [unrolled: 1-line block ×3, first 2 shown]
	s_delay_alu instid0(VALU_DEP_4) | instskip(SKIP_1) | instid1(VALU_DEP_4)
	v_add_f64 v[17:18], v[68:69], v[21:22]
	v_add_f64 v[21:22], v[68:69], -v[21:22]
	v_fma_f64 v[27:28], v[56:57], s[18:19], v[27:28]
	s_delay_alu instid0(VALU_DEP_4) | instskip(SKIP_1) | instid1(VALU_DEP_3)
	v_add_f64 v[19:20], v[70:71], v[23:24]
	v_add_f64 v[23:24], v[70:71], -v[23:24]
	v_fma_f64 v[60:61], v[60:61], s[16:17], v[27:28]
	v_fma_f64 v[27:28], v[76:77], s[20:21], v[33:34]
	;; [unrolled: 1-line block ×5, first 2 shown]
	s_delay_alu instid0(VALU_DEP_4) | instskip(NEXT) | instid1(VALU_DEP_4)
	v_fma_f64 v[27:28], v[82:83], s[18:19], v[27:28]
	v_fma_f64 v[33:34], v[76:77], s[18:19], v[33:34]
	s_delay_alu instid0(VALU_DEP_4) | instskip(NEXT) | instid1(VALU_DEP_3)
	v_fma_f64 v[37:38], v[44:45], s[12:13], v[38:39]
	v_fma_f64 v[25:26], v[25:26], s[16:17], v[27:28]
	;; [unrolled: 1-line block ×7, first 2 shown]
	v_mul_f64 v[29:30], v[25:26], s[22:23]
	v_fma_f64 v[27:28], v[78:79], s[12:13], v[27:28]
	v_mul_f64 v[25:26], v[25:26], s[26:27]
	v_fma_f64 v[35:36], v[58:59], s[16:17], v[39:40]
	v_mul_f64 v[39:40], v[33:34], s[18:19]
	v_mul_f64 v[33:34], v[33:34], s[28:29]
	v_fma_f64 v[27:28], v[64:65], s[16:17], v[27:28]
	s_delay_alu instid0(VALU_DEP_3) | instskip(NEXT) | instid1(VALU_DEP_3)
	v_fma_f64 v[39:40], v[35:36], s[28:29], v[39:40]
	v_fma_f64 v[43:44], v[35:36], s[12:13], v[33:34]
	s_delay_alu instid0(VALU_DEP_3) | instskip(SKIP_1) | instid1(VALU_DEP_4)
	v_fma_f64 v[29:30], v[27:28], s[26:27], v[29:30]
	v_fma_f64 v[31:32], v[27:28], s[20:21], v[25:26]
	v_add_f64 v[33:34], v[37:38], v[39:40]
	s_delay_alu instid0(VALU_DEP_4)
	v_add_f64 v[35:36], v[41:42], v[43:44]
	v_add_f64 v[37:38], v[37:38], -v[39:40]
	v_add_f64 v[39:40], v[41:42], -v[43:44]
	v_add_f64 v[25:26], v[48:49], v[29:30]
	v_add_f64 v[27:28], v[60:61], v[31:32]
	v_add_f64 v[29:30], v[48:49], -v[29:30]
	v_add_f64 v[31:32], v[60:61], -v[31:32]
	ds_store_b128 v162, v[0:3]
	ds_store_b128 v162, v[9:12] offset:16
	ds_store_b128 v162, v[17:20] offset:32
	;; [unrolled: 1-line block ×9, first 2 shown]
	s_waitcnt lgkmcnt(0)
	s_barrier
	buffer_gl0_inv
	s_clause 0x1
	scratch_load_b128 v[7:10], off, off offset:540
	scratch_load_b128 v[12:15], off, off offset:636
	ds_load_b128 v[0:3], v4 offset:7680
	scratch_load_b128 v[72:75], off, off offset:924 ; 16-byte Folded Reload
	s_waitcnt vmcnt(2) lgkmcnt(0)
	v_mul_f64 v[5:6], v[9:10], v[2:3]
	s_delay_alu instid0(VALU_DEP_1) | instskip(SKIP_1) | instid1(VALU_DEP_1)
	v_fma_f64 v[80:81], v[7:8], v[0:1], v[5:6]
	v_mul_f64 v[0:1], v[9:10], v[0:1]
	v_fma_f64 v[82:83], v[7:8], v[2:3], -v[0:1]
	scratch_load_b128 v[7:10], off, off offset:556 ; 16-byte Folded Reload
	ds_load_b128 v[0:3], v4 offset:15360
	s_waitcnt vmcnt(0) lgkmcnt(0)
	v_mul_f64 v[5:6], v[9:10], v[2:3]
	s_delay_alu instid0(VALU_DEP_1) | instskip(SKIP_1) | instid1(VALU_DEP_1)
	v_fma_f64 v[84:85], v[7:8], v[0:1], v[5:6]
	v_mul_f64 v[0:1], v[9:10], v[0:1]
	v_fma_f64 v[86:87], v[7:8], v[2:3], -v[0:1]
	scratch_load_b128 v[7:10], off, off offset:572 ; 16-byte Folded Reload
	ds_load_b128 v[0:3], v4 offset:23040
	;; [unrolled: 8-line block ×5, first 2 shown]
	s_waitcnt vmcnt(0) lgkmcnt(0)
	v_mul_f64 v[5:6], v[9:10], v[2:3]
	s_delay_alu instid0(VALU_DEP_1) | instskip(SKIP_1) | instid1(VALU_DEP_1)
	v_fma_f64 v[56:57], v[7:8], v[0:1], v[5:6]
	v_mul_f64 v[0:1], v[9:10], v[0:1]
	v_fma_f64 v[98:99], v[7:8], v[2:3], -v[0:1]
	ds_load_b128 v[0:3], v4 offset:16896
	s_waitcnt lgkmcnt(0)
	v_mul_f64 v[5:6], v[14:15], v[2:3]
	s_delay_alu instid0(VALU_DEP_1) | instskip(SKIP_1) | instid1(VALU_DEP_1)
	v_fma_f64 v[10:11], v[12:13], v[0:1], v[5:6]
	v_mul_f64 v[0:1], v[14:15], v[0:1]
	v_fma_f64 v[96:97], v[12:13], v[2:3], -v[0:1]
	scratch_load_b128 v[12:15], off, off offset:652 ; 16-byte Folded Reload
	ds_load_b128 v[0:3], v4 offset:24576
	s_waitcnt vmcnt(0) lgkmcnt(0)
	v_mul_f64 v[5:6], v[14:15], v[2:3]
	s_delay_alu instid0(VALU_DEP_1) | instskip(SKIP_1) | instid1(VALU_DEP_1)
	v_fma_f64 v[94:95], v[12:13], v[0:1], v[5:6]
	v_mul_f64 v[0:1], v[14:15], v[0:1]
	v_fma_f64 v[8:9], v[12:13], v[2:3], -v[0:1]
	scratch_load_b128 v[12:15], off, off offset:668 ; 16-byte Folded Reload
	ds_load_b128 v[0:3], v4 offset:32256
	s_waitcnt vmcnt(0) lgkmcnt(0)
	v_mul_f64 v[5:6], v[14:15], v[2:3]
	s_delay_alu instid0(VALU_DEP_1)
	v_fma_f64 v[6:7], v[12:13], v[0:1], v[5:6]
	v_mul_f64 v[0:1], v[14:15], v[0:1]
	scratch_load_b128 v[14:17], off, off offset:684 ; 16-byte Folded Reload
	v_fma_f64 v[92:93], v[12:13], v[2:3], -v[0:1]
	ds_load_b128 v[0:3], v4 offset:39936
	s_waitcnt vmcnt(0) lgkmcnt(0)
	v_mul_f64 v[12:13], v[16:17], v[2:3]
	s_delay_alu instid0(VALU_DEP_1) | instskip(SKIP_1) | instid1(VALU_DEP_1)
	v_fma_f64 v[90:91], v[14:15], v[0:1], v[12:13]
	v_mul_f64 v[0:1], v[16:17], v[0:1]
	v_fma_f64 v[70:71], v[14:15], v[2:3], -v[0:1]
	scratch_load_b128 v[14:17], off, off offset:700 ; 16-byte Folded Reload
	ds_load_b128 v[0:3], v4 offset:10752
	s_waitcnt vmcnt(0) lgkmcnt(0)
	v_mul_f64 v[12:13], v[16:17], v[2:3]
	s_delay_alu instid0(VALU_DEP_1) | instskip(SKIP_1) | instid1(VALU_DEP_1)
	v_fma_f64 v[60:61], v[14:15], v[0:1], v[12:13]
	v_mul_f64 v[0:1], v[16:17], v[0:1]
	v_fma_f64 v[58:59], v[14:15], v[2:3], -v[0:1]
	scratch_load_b128 v[14:17], off, off offset:716 ; 16-byte Folded Reload
	;; [unrolled: 8-line block ×3, first 2 shown]
	ds_load_b128 v[0:3], v4 offset:26112
	s_waitcnt vmcnt(0) lgkmcnt(0)
	v_mul_f64 v[12:13], v[16:17], v[2:3]
	s_delay_alu instid0(VALU_DEP_1)
	v_fma_f64 v[54:55], v[14:15], v[0:1], v[12:13]
	v_mul_f64 v[0:1], v[16:17], v[0:1]
	scratch_load_b128 v[16:19], off, off offset:748 ; 16-byte Folded Reload
	v_fma_f64 v[52:53], v[14:15], v[2:3], -v[0:1]
	ds_load_b128 v[0:3], v4 offset:33792
	s_waitcnt vmcnt(0) lgkmcnt(0)
	v_mul_f64 v[12:13], v[18:19], v[2:3]
	s_delay_alu instid0(VALU_DEP_1) | instskip(SKIP_1) | instid1(VALU_DEP_1)
	v_fma_f64 v[14:15], v[16:17], v[0:1], v[12:13]
	v_mul_f64 v[0:1], v[18:19], v[0:1]
	v_fma_f64 v[102:103], v[16:17], v[2:3], -v[0:1]
	scratch_load_b128 v[16:19], off, off offset:764 ; 16-byte Folded Reload
	ds_load_b128 v[0:3], v4 offset:41472
	s_waitcnt vmcnt(0) lgkmcnt(0)
	v_mul_f64 v[12:13], v[18:19], v[2:3]
	s_delay_alu instid0(VALU_DEP_1)
	v_fma_f64 v[100:101], v[16:17], v[0:1], v[12:13]
	v_mul_f64 v[0:1], v[18:19], v[0:1]
	scratch_load_b128 v[18:21], off, off offset:780 ; 16-byte Folded Reload
	v_fma_f64 v[12:13], v[16:17], v[2:3], -v[0:1]
	ds_load_b128 v[0:3], v4 offset:12288
	s_waitcnt vmcnt(0) lgkmcnt(0)
	v_mul_f64 v[16:17], v[20:21], v[2:3]
	s_delay_alu instid0(VALU_DEP_1) | instskip(SKIP_1) | instid1(VALU_DEP_1)
	v_fma_f64 v[64:65], v[18:19], v[0:1], v[16:17]
	v_mul_f64 v[0:1], v[20:21], v[0:1]
	v_fma_f64 v[62:63], v[18:19], v[2:3], -v[0:1]
	scratch_load_b128 v[18:21], off, off offset:796 ; 16-byte Folded Reload
	ds_load_b128 v[0:3], v4 offset:19968
	s_waitcnt vmcnt(0) lgkmcnt(0)
	v_mul_f64 v[16:17], v[20:21], v[2:3]
	s_delay_alu instid0(VALU_DEP_1) | instskip(SKIP_1) | instid1(VALU_DEP_1)
	v_fma_f64 v[28:29], v[18:19], v[0:1], v[16:17]
	v_mul_f64 v[0:1], v[20:21], v[0:1]
	v_fma_f64 v[30:31], v[18:19], v[2:3], -v[0:1]
	scratch_load_b128 v[18:21], off, off offset:812 ; 16-byte Folded Reload
	;; [unrolled: 8-line block ×8, first 2 shown]
	ds_load_b128 v[0:3], v4 offset:36864
	s_waitcnt vmcnt(0) lgkmcnt(0)
	v_mul_f64 v[16:17], v[20:21], v[2:3]
	s_delay_alu instid0(VALU_DEP_1) | instskip(SKIP_1) | instid1(VALU_DEP_1)
	v_fma_f64 v[16:17], v[18:19], v[0:1], v[16:17]
	v_mul_f64 v[0:1], v[20:21], v[0:1]
	v_fma_f64 v[18:19], v[18:19], v[2:3], -v[0:1]
	ds_load_b128 v[0:3], v4 offset:44544
	s_waitcnt lgkmcnt(0)
	v_mul_f64 v[20:21], v[74:75], v[2:3]
	s_delay_alu instid0(VALU_DEP_1) | instskip(SKIP_1) | instid1(VALU_DEP_1)
	v_fma_f64 v[22:23], v[72:73], v[0:1], v[20:21]
	v_mul_f64 v[0:1], v[74:75], v[0:1]
	v_fma_f64 v[20:21], v[72:73], v[2:3], -v[0:1]
	v_add_f64 v[72:73], v[84:85], v[106:107]
	ds_load_b128 v[0:3], v4
	s_waitcnt lgkmcnt(0)
	v_fma_f64 v[114:115], v[72:73], -0.5, v[0:1]
	v_add_f64 v[72:73], v[86:87], v[108:109]
	v_add_f64 v[0:1], v[0:1], v[84:85]
	s_delay_alu instid0(VALU_DEP_2) | instskip(SKIP_2) | instid1(VALU_DEP_4)
	v_fma_f64 v[116:117], v[72:73], -0.5, v[2:3]
	v_add_f64 v[72:73], v[80:81], v[88:89]
	v_add_f64 v[2:3], v[2:3], v[86:87]
	;; [unrolled: 1-line block ×3, first 2 shown]
	v_add_f64 v[106:107], v[84:85], -v[106:107]
	s_delay_alu instid0(VALU_DEP_4) | instskip(SKIP_3) | instid1(VALU_DEP_3)
	v_add_f64 v[76:77], v[72:73], v[110:111]
	v_add_f64 v[72:73], v[82:83], v[104:105]
	;; [unrolled: 1-line block ×3, first 2 shown]
	v_add_f64 v[108:109], v[86:87], -v[108:109]
	v_add_f64 v[78:79], v[72:73], v[112:113]
	v_add_f64 v[72:73], v[0:1], v[76:77]
	v_add_f64 v[76:77], v[0:1], -v[76:77]
	v_add_f64 v[0:1], v[88:89], v[110:111]
	s_delay_alu instid0(VALU_DEP_4)
	v_add_f64 v[74:75], v[2:3], v[78:79]
	v_add_f64 v[78:79], v[2:3], -v[78:79]
	v_add_f64 v[2:3], v[88:89], -v[110:111]
	v_add_f64 v[88:89], v[104:105], v[112:113]
	v_add_f64 v[104:105], v[104:105], -v[112:113]
	v_fma_f64 v[0:1], v[0:1], -0.5, v[80:81]
	v_fma_f64 v[112:113], v[106:107], s[2:3], v[116:117]
	s_delay_alu instid0(VALU_DEP_4) | instskip(NEXT) | instid1(VALU_DEP_3)
	v_fma_f64 v[88:89], v[88:89], -0.5, v[82:83]
	v_fma_f64 v[84:85], v[104:105], s[8:9], v[0:1]
	v_fma_f64 v[0:1], v[104:105], s[2:3], v[0:1]
	s_delay_alu instid0(VALU_DEP_3) | instskip(SKIP_2) | instid1(VALU_DEP_3)
	v_fma_f64 v[80:81], v[2:3], s[2:3], v[88:89]
	v_fma_f64 v[2:3], v[2:3], s[8:9], v[88:89]
	;; [unrolled: 1-line block ×3, first 2 shown]
	v_mul_f64 v[82:83], v[80:81], s[8:9]
	v_mul_f64 v[80:81], v[80:81], 0.5
	s_delay_alu instid0(VALU_DEP_4) | instskip(SKIP_1) | instid1(VALU_DEP_4)
	v_mul_f64 v[104:105], v[2:3], s[8:9]
	v_mul_f64 v[2:3], v[2:3], -0.5
	v_fma_f64 v[86:87], v[84:85], 0.5, v[82:83]
	s_delay_alu instid0(VALU_DEP_4) | instskip(SKIP_3) | instid1(VALU_DEP_4)
	v_fma_f64 v[110:111], v[84:85], s[2:3], v[80:81]
	v_fma_f64 v[84:85], v[108:109], s[8:9], v[114:115]
	v_fma_f64 v[108:109], v[0:1], -0.5, v[104:105]
	v_fma_f64 v[0:1], v[0:1], s[2:3], v[2:3]
	v_add_f64 v[82:83], v[112:113], v[110:111]
	s_delay_alu instid0(VALU_DEP_4)
	v_add_f64 v[80:81], v[84:85], v[86:87]
	v_add_f64 v[84:85], v[84:85], -v[86:87]
	v_add_f64 v[86:87], v[112:113], -v[110:111]
	v_fma_f64 v[110:111], v[106:107], s[8:9], v[116:117]
	v_add_f64 v[104:105], v[88:89], v[108:109]
	v_add_f64 v[108:109], v[88:89], -v[108:109]
	v_add_f64 v[88:89], v[94:95], -v[90:91]
	s_delay_alu instid0(VALU_DEP_4)
	v_add_f64 v[106:107], v[110:111], v[0:1]
	v_add_f64 v[110:111], v[110:111], -v[0:1]
	ds_load_b128 v[0:3], v4 offset:6144
	ds_load_b128 v[112:115], v4 offset:1536
	;; [unrolled: 1-line block ×4, first 2 shown]
	s_waitcnt lgkmcnt(0)
	s_barrier
	buffer_gl0_inv
	scratch_load_b32 v5, off, off offset:1184 ; 4-byte Folded Reload
	s_waitcnt vmcnt(0)
	ds_store_b128 v5, v[72:75]
	ds_store_b128 v5, v[76:79] offset:480
	ds_store_b128 v5, v[80:83] offset:160
	ds_store_b128 v5, v[104:107] offset:320
	ds_store_b128 v5, v[84:87] offset:640
	ds_store_b128 v5, v[108:111] offset:800
	v_add_f64 v[72:73], v[10:11], v[6:7]
	v_add_f64 v[74:75], v[114:115], v[96:97]
	s_delay_alu instid0(VALU_DEP_2) | instskip(SKIP_1) | instid1(VALU_DEP_3)
	v_fma_f64 v[84:85], v[72:73], -0.5, v[112:113]
	v_add_f64 v[72:73], v[96:97], v[92:93]
	v_add_f64 v[78:79], v[74:75], v[92:93]
	v_add_f64 v[92:93], v[96:97], -v[92:93]
	s_delay_alu instid0(VALU_DEP_3) | instskip(SKIP_2) | instid1(VALU_DEP_2)
	v_fma_f64 v[86:87], v[72:73], -0.5, v[114:115]
	v_add_f64 v[72:73], v[112:113], v[10:11]
	v_add_f64 v[10:11], v[10:11], -v[6:7]
	v_add_f64 v[76:77], v[72:73], v[6:7]
	v_add_f64 v[72:73], v[56:57], v[94:95]
	s_delay_alu instid0(VALU_DEP_3) | instskip(NEXT) | instid1(VALU_DEP_2)
	v_fma_f64 v[96:97], v[10:11], s[2:3], v[86:87]
	v_add_f64 v[80:81], v[72:73], v[90:91]
	v_add_f64 v[72:73], v[98:99], v[8:9]
	s_delay_alu instid0(VALU_DEP_1) | instskip(NEXT) | instid1(VALU_DEP_3)
	v_add_f64 v[82:83], v[72:73], v[70:71]
	v_add_f64 v[72:73], v[76:77], v[80:81]
	v_add_f64 v[76:77], v[76:77], -v[80:81]
	v_add_f64 v[80:81], v[94:95], v[90:91]
	s_delay_alu instid0(VALU_DEP_4)
	v_add_f64 v[74:75], v[78:79], v[82:83]
	v_add_f64 v[78:79], v[78:79], -v[82:83]
	v_add_f64 v[82:83], v[8:9], v[70:71]
	v_add_f64 v[70:71], v[8:9], -v[70:71]
	v_fma_f64 v[56:57], v[80:81], -0.5, v[56:57]
	v_fma_f64 v[9:10], v[10:11], s[8:9], v[86:87]
	s_delay_alu instid0(VALU_DEP_4) | instskip(NEXT) | instid1(VALU_DEP_3)
	v_fma_f64 v[90:91], v[82:83], -0.5, v[98:99]
	v_fma_f64 v[80:81], v[70:71], s[8:9], v[56:57]
	v_fma_f64 v[56:57], v[70:71], s[2:3], v[56:57]
	s_delay_alu instid0(VALU_DEP_3) | instskip(SKIP_2) | instid1(VALU_DEP_3)
	v_fma_f64 v[5:6], v[88:89], s[2:3], v[90:91]
	v_fma_f64 v[88:89], v[88:89], s[8:9], v[90:91]
	;; [unrolled: 1-line block ×3, first 2 shown]
	v_mul_f64 v[7:8], v[5:6], s[8:9]
	v_mul_f64 v[5:6], v[5:6], 0.5
	s_delay_alu instid0(VALU_DEP_4) | instskip(NEXT) | instid1(VALU_DEP_3)
	v_mul_f64 v[70:71], v[88:89], s[8:9]
	v_fma_f64 v[82:83], v[80:81], 0.5, v[7:8]
	s_delay_alu instid0(VALU_DEP_3) | instskip(SKIP_3) | instid1(VALU_DEP_4)
	v_fma_f64 v[94:95], v[80:81], s[2:3], v[5:6]
	v_fma_f64 v[80:81], v[92:93], s[8:9], v[84:85]
	v_mul_f64 v[84:85], v[88:89], -0.5
	v_fma_f64 v[70:71], v[56:57], -0.5, v[70:71]
	v_add_f64 v[7:8], v[96:97], v[94:95]
	s_delay_alu instid0(VALU_DEP_4) | instskip(NEXT) | instid1(VALU_DEP_4)
	v_add_f64 v[5:6], v[80:81], v[82:83]
	v_fma_f64 v[56:57], v[56:57], s[2:3], v[84:85]
	s_delay_alu instid0(VALU_DEP_4)
	v_add_f64 v[84:85], v[90:91], v[70:71]
	v_add_f64 v[88:89], v[90:91], -v[70:71]
	v_add_f64 v[80:81], v[80:81], -v[82:83]
	;; [unrolled: 1-line block ×3, first 2 shown]
	v_add_f64 v[86:87], v[9:10], v[56:57]
	v_add_f64 v[90:91], v[9:10], -v[56:57]
	scratch_load_b32 v9, off, off offset:1112 ; 4-byte Folded Reload
	s_waitcnt vmcnt(0)
	ds_store_b128 v9, v[72:75]
	ds_store_b128 v9, v[5:8] offset:160
	ds_store_b128 v9, v[84:87] offset:320
	;; [unrolled: 1-line block ×5, first 2 shown]
	v_add_f64 v[5:6], v[48:49], v[14:15]
	v_add_f64 v[7:8], v[118:119], v[50:51]
	s_delay_alu instid0(VALU_DEP_2) | instskip(SKIP_1) | instid1(VALU_DEP_3)
	v_fma_f64 v[56:57], v[5:6], -0.5, v[116:117]
	v_add_f64 v[5:6], v[50:51], v[102:103]
	v_add_f64 v[72:73], v[7:8], v[102:103]
	s_delay_alu instid0(VALU_DEP_2) | instskip(SKIP_1) | instid1(VALU_DEP_1)
	v_fma_f64 v[74:75], v[5:6], -0.5, v[118:119]
	v_add_f64 v[5:6], v[116:117], v[48:49]
	v_add_f64 v[9:10], v[5:6], v[14:15]
	;; [unrolled: 1-line block ×3, first 2 shown]
	v_add_f64 v[14:15], v[48:49], -v[14:15]
	s_delay_alu instid0(VALU_DEP_2) | instskip(SKIP_1) | instid1(VALU_DEP_3)
	v_add_f64 v[70:71], v[5:6], v[100:101]
	v_add_f64 v[5:6], v[58:59], v[52:53]
	v_fma_f64 v[80:81], v[14:15], s[2:3], v[74:75]
	s_delay_alu instid0(VALU_DEP_2) | instskip(NEXT) | instid1(VALU_DEP_4)
	v_add_f64 v[76:77], v[5:6], v[12:13]
	v_add_f64 v[5:6], v[9:10], v[70:71]
	v_add_f64 v[70:71], v[9:10], -v[70:71]
	v_add_f64 v[9:10], v[54:55], v[100:101]
	v_add_f64 v[54:55], v[54:55], -v[100:101]
	;; [unrolled: 2-line block ×4, first 2 shown]
	v_fma_f64 v[60:61], v[9:10], -0.5, v[60:61]
	v_fma_f64 v[13:14], v[14:15], s[8:9], v[74:75]
	s_delay_alu instid0(VALU_DEP_4) | instskip(SKIP_1) | instid1(VALU_DEP_4)
	v_fma_f64 v[58:59], v[76:77], -0.5, v[58:59]
	v_add_f64 v[76:77], v[50:51], -v[102:103]
	v_fma_f64 v[48:49], v[52:53], s[8:9], v[60:61]
	v_fma_f64 v[52:53], v[52:53], s[2:3], v[60:61]
	s_delay_alu instid0(VALU_DEP_4) | instskip(SKIP_1) | instid1(VALU_DEP_2)
	v_fma_f64 v[9:10], v[54:55], s[2:3], v[58:59]
	v_fma_f64 v[54:55], v[54:55], s[8:9], v[58:59]
	v_mul_f64 v[11:12], v[9:10], s[8:9]
	v_mul_f64 v[9:10], v[9:10], 0.5
	s_delay_alu instid0(VALU_DEP_3) | instskip(SKIP_1) | instid1(VALU_DEP_4)
	v_mul_f64 v[58:59], v[54:55], s[8:9]
	v_mul_f64 v[54:55], v[54:55], -0.5
	v_fma_f64 v[50:51], v[48:49], 0.5, v[11:12]
	s_delay_alu instid0(VALU_DEP_4)
	v_fma_f64 v[78:79], v[48:49], s[2:3], v[9:10]
	v_fma_f64 v[48:49], v[76:77], s[8:9], v[56:57]
	v_fma_f64 v[56:57], v[76:77], s[2:3], v[56:57]
	v_fma_f64 v[58:59], v[52:53], -0.5, v[58:59]
	v_fma_f64 v[60:61], v[52:53], s[2:3], v[54:55]
	v_add_f64 v[11:12], v[80:81], v[78:79]
	v_add_f64 v[9:10], v[48:49], v[50:51]
	v_add_f64 v[48:49], v[48:49], -v[50:51]
	v_add_f64 v[52:53], v[56:57], v[58:59]
	v_add_f64 v[54:55], v[13:14], v[60:61]
	v_add_f64 v[56:57], v[56:57], -v[58:59]
	v_add_f64 v[58:59], v[13:14], -v[60:61]
	scratch_load_b32 v13, off, off offset:1028 ; 4-byte Folded Reload
	v_add_f64 v[50:51], v[80:81], -v[78:79]
	s_waitcnt vmcnt(0)
	ds_store_b128 v13, v[5:8]
	ds_store_b128 v13, v[9:12] offset:160
	ds_store_b128 v13, v[52:55] offset:320
	;; [unrolled: 1-line block ×5, first 2 shown]
	v_add_f64 v[5:6], v[28:29], v[36:37]
	v_add_f64 v[7:8], v[122:123], v[30:31]
	s_delay_alu instid0(VALU_DEP_2) | instskip(SKIP_1) | instid1(VALU_DEP_3)
	v_fma_f64 v[13:14], v[5:6], -0.5, v[120:121]
	v_add_f64 v[5:6], v[30:31], v[38:39]
	v_add_f64 v[11:12], v[7:8], v[38:39]
	v_add_f64 v[38:39], v[30:31], -v[38:39]
	s_delay_alu instid0(VALU_DEP_3) | instskip(SKIP_1) | instid1(VALU_DEP_1)
	v_fma_f64 v[48:49], v[5:6], -0.5, v[122:123]
	v_add_f64 v[5:6], v[120:121], v[28:29]
	v_add_f64 v[9:10], v[5:6], v[36:37]
	;; [unrolled: 1-line block ×3, first 2 shown]
	v_add_f64 v[36:37], v[28:29], -v[36:37]
	s_delay_alu instid0(VALU_DEP_2) | instskip(SKIP_1) | instid1(VALU_DEP_3)
	v_add_f64 v[50:51], v[5:6], v[42:43]
	v_add_f64 v[5:6], v[62:63], v[32:33]
	v_fma_f64 v[56:57], v[36:37], s[2:3], v[48:49]
	v_fma_f64 v[48:49], v[36:37], s[8:9], v[48:49]
	s_delay_alu instid0(VALU_DEP_3)
	v_add_f64 v[52:53], v[5:6], v[40:41]
	v_add_f64 v[5:6], v[9:10], v[50:51]
	v_add_f64 v[9:10], v[9:10], -v[50:51]
	v_add_f64 v[50:51], v[34:35], v[42:43]
	v_add_f64 v[42:43], v[34:35], -v[42:43]
	;; [unrolled: 2-line block ×4, first 2 shown]
	v_fma_f64 v[50:51], v[50:51], -0.5, v[64:65]
	v_fma_f64 v[52:53], v[34:35], -0.5, v[62:63]
	s_delay_alu instid0(VALU_DEP_2) | instskip(SKIP_1) | instid1(VALU_DEP_3)
	v_fma_f64 v[32:33], v[40:41], s[8:9], v[50:51]
	v_fma_f64 v[36:37], v[40:41], s[2:3], v[50:51]
	v_fma_f64 v[28:29], v[42:43], s[2:3], v[52:53]
	v_fma_f64 v[42:43], v[42:43], s[8:9], v[52:53]
	s_delay_alu instid0(VALU_DEP_2) | instskip(SKIP_1) | instid1(VALU_DEP_3)
	v_mul_f64 v[30:31], v[28:29], s[8:9]
	v_mul_f64 v[28:29], v[28:29], 0.5
	v_mul_f64 v[40:41], v[42:43], -0.5
	s_delay_alu instid0(VALU_DEP_3) | instskip(NEXT) | instid1(VALU_DEP_3)
	v_fma_f64 v[34:35], v[32:33], 0.5, v[30:31]
	v_fma_f64 v[54:55], v[32:33], s[2:3], v[28:29]
	v_fma_f64 v[32:33], v[38:39], s[8:9], v[13:14]
	;; [unrolled: 1-line block ×3, first 2 shown]
	v_mul_f64 v[38:39], v[42:43], s[8:9]
	v_fma_f64 v[50:51], v[36:37], s[2:3], v[40:41]
	v_add_f64 v[30:31], v[56:57], v[54:55]
	v_add_f64 v[28:29], v[32:33], v[34:35]
	v_add_f64 v[32:33], v[32:33], -v[34:35]
	v_fma_f64 v[42:43], v[36:37], -0.5, v[38:39]
	v_add_f64 v[38:39], v[48:49], v[50:51]
	v_add_f64 v[34:35], v[56:57], -v[54:55]
	s_delay_alu instid0(VALU_DEP_3)
	v_add_f64 v[36:37], v[13:14], v[42:43]
	v_add_f64 v[40:41], v[13:14], -v[42:43]
	scratch_load_b32 v13, off, off offset:1008 ; 4-byte Folded Reload
	v_add_f64 v[42:43], v[48:49], -v[50:51]
	s_waitcnt vmcnt(0)
	ds_store_b128 v13, v[5:8]
	ds_store_b128 v13, v[28:31] offset:160
	ds_store_b128 v13, v[36:39] offset:320
	ds_store_b128 v13, v[9:12] offset:480
	ds_store_b128 v13, v[32:35] offset:640
	ds_store_b128 v13, v[40:43] offset:800
	v_add_f64 v[5:6], v[46:47], v[16:17]
	v_add_f64 v[32:33], v[46:47], -v[16:17]
	s_delay_alu instid0(VALU_DEP_2) | instskip(SKIP_2) | instid1(VALU_DEP_2)
	v_fma_f64 v[28:29], v[5:6], -0.5, v[0:1]
	v_add_f64 v[5:6], v[44:45], v[18:19]
	v_add_f64 v[0:1], v[0:1], v[46:47]
	v_fma_f64 v[30:31], v[5:6], -0.5, v[2:3]
	s_delay_alu instid0(VALU_DEP_2) | instskip(SKIP_2) | instid1(VALU_DEP_4)
	v_add_f64 v[5:6], v[0:1], v[16:17]
	v_add_f64 v[0:1], v[68:69], v[24:25]
	;; [unrolled: 1-line block ×3, first 2 shown]
	v_fma_f64 v[36:37], v[32:33], s[2:3], v[30:31]
	s_delay_alu instid0(VALU_DEP_3) | instskip(SKIP_1) | instid1(VALU_DEP_4)
	v_add_f64 v[9:10], v[0:1], v[22:23]
	v_add_f64 v[0:1], v[66:67], v[26:27]
	;; [unrolled: 1-line block ×3, first 2 shown]
	v_add_f64 v[18:19], v[44:45], -v[18:19]
	s_delay_alu instid0(VALU_DEP_3)
	v_add_f64 v[11:12], v[0:1], v[20:21]
	v_add_f64 v[0:1], v[5:6], v[9:10]
	v_add_f64 v[5:6], v[5:6], -v[9:10]
	v_add_f64 v[9:10], v[24:25], v[22:23]
	v_add_f64 v[22:23], v[24:25], -v[22:23]
	;; [unrolled: 2-line block ×4, first 2 shown]
	v_fma_f64 v[26:27], v[9:10], -0.5, v[68:69]
	s_delay_alu instid0(VALU_DEP_3) | instskip(NEXT) | instid1(VALU_DEP_2)
	v_fma_f64 v[24:25], v[11:12], -0.5, v[66:67]
	v_fma_f64 v[13:14], v[20:21], s[8:9], v[26:27]
	s_delay_alu instid0(VALU_DEP_2) | instskip(SKIP_2) | instid1(VALU_DEP_3)
	v_fma_f64 v[9:10], v[22:23], s[2:3], v[24:25]
	v_fma_f64 v[22:23], v[22:23], s[8:9], v[24:25]
	;; [unrolled: 1-line block ×3, first 2 shown]
	v_mul_f64 v[11:12], v[9:10], s[8:9]
	v_mul_f64 v[9:10], v[9:10], 0.5
	s_delay_alu instid0(VALU_DEP_2) | instskip(NEXT) | instid1(VALU_DEP_2)
	v_fma_f64 v[15:16], v[13:14], 0.5, v[11:12]
	v_fma_f64 v[34:35], v[13:14], s[2:3], v[9:10]
	v_fma_f64 v[13:14], v[18:19], s[8:9], v[28:29]
	;; [unrolled: 1-line block ×3, first 2 shown]
	v_mul_f64 v[19:20], v[22:23], s[8:9]
	v_mul_f64 v[21:22], v[22:23], -0.5
	v_fma_f64 v[28:29], v[32:33], s[8:9], v[30:31]
	v_add_f64 v[11:12], v[36:37], v[34:35]
	v_add_f64 v[9:10], v[13:14], v[15:16]
	v_add_f64 v[13:14], v[13:14], -v[15:16]
	v_fma_f64 v[26:27], v[17:18], -0.5, v[19:20]
	v_fma_f64 v[30:31], v[17:18], s[2:3], v[21:22]
	v_add_f64 v[15:16], v[36:37], -v[34:35]
	s_delay_alu instid0(VALU_DEP_3)
	v_add_f64 v[17:18], v[24:25], v[26:27]
	v_add_f64 v[21:22], v[24:25], -v[26:27]
	scratch_load_b32 v25, off, off offset:940 ; 4-byte Folded Reload
	v_add_f64 v[19:20], v[28:29], v[30:31]
	v_add_f64 v[23:24], v[28:29], -v[30:31]
	s_waitcnt vmcnt(0)
	ds_store_b128 v25, v[0:3]
	ds_store_b128 v25, v[9:12] offset:160
	ds_store_b128 v25, v[17:20] offset:320
	;; [unrolled: 1-line block ×5, first 2 shown]
	s_waitcnt lgkmcnt(0)
	s_barrier
	buffer_gl0_inv
	s_clause 0x1
	scratch_load_b128 v[7:10], off, off offset:944
	scratch_load_b128 v[16:19], off, off offset:1316
	ds_load_b128 v[0:3], v4 offset:7680
	scratch_load_b128 v[72:75], off, off offset:1352 ; 16-byte Folded Reload
	s_waitcnt vmcnt(2) lgkmcnt(0)
	v_mul_f64 v[5:6], v[9:10], v[2:3]
	s_delay_alu instid0(VALU_DEP_1) | instskip(SKIP_1) | instid1(VALU_DEP_1)
	v_fma_f64 v[80:81], v[7:8], v[0:1], v[5:6]
	v_mul_f64 v[0:1], v[9:10], v[0:1]
	v_fma_f64 v[82:83], v[7:8], v[2:3], -v[0:1]
	scratch_load_b128 v[7:10], off, off offset:960 ; 16-byte Folded Reload
	ds_load_b128 v[0:3], v4 offset:15360
	s_waitcnt vmcnt(0) lgkmcnt(0)
	v_mul_f64 v[5:6], v[9:10], v[2:3]
	s_delay_alu instid0(VALU_DEP_1) | instskip(SKIP_1) | instid1(VALU_DEP_1)
	v_fma_f64 v[84:85], v[7:8], v[0:1], v[5:6]
	v_mul_f64 v[0:1], v[9:10], v[0:1]
	v_fma_f64 v[86:87], v[7:8], v[2:3], -v[0:1]
	scratch_load_b128 v[7:10], off, off offset:976 ; 16-byte Folded Reload
	ds_load_b128 v[0:3], v4 offset:23040
	;; [unrolled: 8-line block ×20, first 2 shown]
	s_waitcnt vmcnt(0) lgkmcnt(0)
	v_mul_f64 v[5:6], v[9:10], v[2:3]
	s_delay_alu instid0(VALU_DEP_1)
	v_fma_f64 v[70:71], v[7:8], v[0:1], v[5:6]
	v_mul_f64 v[0:1], v[9:10], v[0:1]
	scratch_load_b128 v[10:13], off, off offset:1300 ; 16-byte Folded Reload
	v_fma_f64 v[6:7], v[7:8], v[2:3], -v[0:1]
	ds_load_b128 v[0:3], v4 offset:21504
	s_waitcnt vmcnt(0) lgkmcnt(0)
	v_mul_f64 v[8:9], v[12:13], v[2:3]
	s_delay_alu instid0(VALU_DEP_1) | instskip(SKIP_1) | instid1(VALU_DEP_1)
	v_fma_f64 v[8:9], v[10:11], v[0:1], v[8:9]
	v_mul_f64 v[0:1], v[12:13], v[0:1]
	v_fma_f64 v[10:11], v[10:11], v[2:3], -v[0:1]
	ds_load_b128 v[0:3], v4 offset:29184
	s_waitcnt lgkmcnt(0)
	v_mul_f64 v[12:13], v[18:19], v[2:3]
	s_delay_alu instid0(VALU_DEP_1)
	v_fma_f64 v[14:15], v[16:17], v[0:1], v[12:13]
	v_mul_f64 v[0:1], v[18:19], v[0:1]
	scratch_load_b128 v[18:21], off, off offset:1332 ; 16-byte Folded Reload
	v_fma_f64 v[12:13], v[16:17], v[2:3], -v[0:1]
	ds_load_b128 v[0:3], v4 offset:36864
	s_waitcnt vmcnt(0) lgkmcnt(0)
	v_mul_f64 v[16:17], v[20:21], v[2:3]
	s_delay_alu instid0(VALU_DEP_1) | instskip(SKIP_1) | instid1(VALU_DEP_1)
	v_fma_f64 v[16:17], v[18:19], v[0:1], v[16:17]
	v_mul_f64 v[0:1], v[20:21], v[0:1]
	v_fma_f64 v[18:19], v[18:19], v[2:3], -v[0:1]
	ds_load_b128 v[0:3], v4 offset:44544
	s_waitcnt lgkmcnt(0)
	v_mul_f64 v[20:21], v[74:75], v[2:3]
	s_delay_alu instid0(VALU_DEP_1) | instskip(SKIP_1) | instid1(VALU_DEP_1)
	v_fma_f64 v[22:23], v[72:73], v[0:1], v[20:21]
	v_mul_f64 v[0:1], v[74:75], v[0:1]
	v_fma_f64 v[20:21], v[72:73], v[2:3], -v[0:1]
	v_add_f64 v[72:73], v[84:85], v[106:107]
	ds_load_b128 v[0:3], v4
	s_waitcnt lgkmcnt(0)
	v_fma_f64 v[114:115], v[72:73], -0.5, v[0:1]
	v_add_f64 v[72:73], v[86:87], v[108:109]
	v_add_f64 v[0:1], v[0:1], v[84:85]
	s_delay_alu instid0(VALU_DEP_2) | instskip(SKIP_2) | instid1(VALU_DEP_4)
	v_fma_f64 v[116:117], v[72:73], -0.5, v[2:3]
	v_add_f64 v[72:73], v[80:81], v[88:89]
	v_add_f64 v[2:3], v[2:3], v[86:87]
	;; [unrolled: 1-line block ×3, first 2 shown]
	v_add_f64 v[106:107], v[84:85], -v[106:107]
	s_delay_alu instid0(VALU_DEP_4) | instskip(SKIP_3) | instid1(VALU_DEP_3)
	v_add_f64 v[76:77], v[72:73], v[110:111]
	v_add_f64 v[72:73], v[82:83], v[104:105]
	;; [unrolled: 1-line block ×3, first 2 shown]
	v_add_f64 v[108:109], v[86:87], -v[108:109]
	v_add_f64 v[78:79], v[72:73], v[112:113]
	v_add_f64 v[72:73], v[0:1], v[76:77]
	v_add_f64 v[76:77], v[0:1], -v[76:77]
	v_add_f64 v[0:1], v[88:89], v[110:111]
	s_delay_alu instid0(VALU_DEP_4)
	v_add_f64 v[74:75], v[2:3], v[78:79]
	v_add_f64 v[78:79], v[2:3], -v[78:79]
	v_add_f64 v[2:3], v[88:89], -v[110:111]
	v_add_f64 v[88:89], v[104:105], v[112:113]
	v_add_f64 v[104:105], v[104:105], -v[112:113]
	v_fma_f64 v[0:1], v[0:1], -0.5, v[80:81]
	v_fma_f64 v[112:113], v[106:107], s[2:3], v[116:117]
	s_delay_alu instid0(VALU_DEP_4) | instskip(NEXT) | instid1(VALU_DEP_3)
	v_fma_f64 v[88:89], v[88:89], -0.5, v[82:83]
	v_fma_f64 v[84:85], v[104:105], s[8:9], v[0:1]
	v_fma_f64 v[0:1], v[104:105], s[2:3], v[0:1]
	s_delay_alu instid0(VALU_DEP_3) | instskip(SKIP_2) | instid1(VALU_DEP_3)
	v_fma_f64 v[80:81], v[2:3], s[2:3], v[88:89]
	v_fma_f64 v[2:3], v[2:3], s[8:9], v[88:89]
	;; [unrolled: 1-line block ×3, first 2 shown]
	v_mul_f64 v[82:83], v[80:81], s[8:9]
	v_mul_f64 v[80:81], v[80:81], 0.5
	s_delay_alu instid0(VALU_DEP_4) | instskip(SKIP_1) | instid1(VALU_DEP_4)
	v_mul_f64 v[104:105], v[2:3], s[8:9]
	v_mul_f64 v[2:3], v[2:3], -0.5
	v_fma_f64 v[86:87], v[84:85], 0.5, v[82:83]
	s_delay_alu instid0(VALU_DEP_4) | instskip(SKIP_3) | instid1(VALU_DEP_4)
	v_fma_f64 v[110:111], v[84:85], s[2:3], v[80:81]
	v_fma_f64 v[84:85], v[108:109], s[8:9], v[114:115]
	v_fma_f64 v[108:109], v[0:1], -0.5, v[104:105]
	v_fma_f64 v[0:1], v[0:1], s[2:3], v[2:3]
	v_add_f64 v[82:83], v[112:113], v[110:111]
	s_delay_alu instid0(VALU_DEP_4)
	v_add_f64 v[80:81], v[84:85], v[86:87]
	v_add_f64 v[84:85], v[84:85], -v[86:87]
	v_add_f64 v[86:87], v[112:113], -v[110:111]
	v_fma_f64 v[110:111], v[106:107], s[8:9], v[116:117]
	v_add_f64 v[104:105], v[88:89], v[108:109]
	v_add_f64 v[108:109], v[88:89], -v[108:109]
	v_add_f64 v[88:89], v[64:65], v[68:69]
	s_delay_alu instid0(VALU_DEP_4)
	v_add_f64 v[106:107], v[110:111], v[0:1]
	v_add_f64 v[110:111], v[110:111], -v[0:1]
	ds_load_b128 v[0:3], v4 offset:6144
	ds_load_b128 v[112:115], v4 offset:1536
	;; [unrolled: 1-line block ×4, first 2 shown]
	s_waitcnt lgkmcnt(0)
	s_barrier
	buffer_gl0_inv
	scratch_load_b32 v5, off, off offset:1500 ; 4-byte Folded Reload
	s_waitcnt vmcnt(0)
	ds_store_b128 v5, v[72:75]
	ds_store_b128 v5, v[76:79] offset:2880
	ds_store_b128 v5, v[80:83] offset:960
	ds_store_b128 v5, v[104:107] offset:1920
	ds_store_b128 v5, v[84:87] offset:3840
	ds_store_b128 v5, v[108:111] offset:4800
	v_add_f64 v[72:73], v[62:63], v[66:67]
	v_add_f64 v[74:75], v[114:115], v[96:97]
	v_fma_f64 v[88:89], v[88:89], -0.5, v[98:99]
	s_delay_alu instid0(VALU_DEP_3) | instskip(SKIP_1) | instid1(VALU_DEP_4)
	v_fma_f64 v[80:81], v[72:73], -0.5, v[112:113]
	v_add_f64 v[72:73], v[96:97], v[92:93]
	v_add_f64 v[78:79], v[74:75], v[92:93]
	s_delay_alu instid0(VALU_DEP_2) | instskip(SKIP_1) | instid1(VALU_DEP_1)
	v_fma_f64 v[82:83], v[72:73], -0.5, v[114:115]
	v_add_f64 v[72:73], v[112:113], v[62:63]
	v_add_f64 v[76:77], v[72:73], v[66:67]
	;; [unrolled: 1-line block ×3, first 2 shown]
	s_delay_alu instid0(VALU_DEP_1) | instskip(SKIP_1) | instid1(VALU_DEP_1)
	v_add_f64 v[84:85], v[72:73], v[90:91]
	v_add_f64 v[72:73], v[98:99], v[64:65]
	;; [unrolled: 1-line block ×3, first 2 shown]
	s_delay_alu instid0(VALU_DEP_3)
	v_add_f64 v[72:73], v[76:77], v[84:85]
	v_add_f64 v[76:77], v[76:77], -v[84:85]
	v_add_f64 v[84:85], v[94:95], v[90:91]
	v_add_f64 v[68:69], v[64:65], -v[68:69]
	;; [unrolled: 2-line block ×3, first 2 shown]
	v_add_f64 v[86:87], v[94:95], -v[90:91]
	v_fma_f64 v[84:85], v[84:85], -0.5, v[60:61]
	v_add_f64 v[90:91], v[96:97], -v[92:93]
	v_add_f64 v[92:93], v[62:63], -v[66:67]
	s_delay_alu instid0(VALU_DEP_4) | instskip(NEXT) | instid1(VALU_DEP_4)
	v_fma_f64 v[60:61], v[86:87], s[2:3], v[88:89]
	v_fma_f64 v[64:65], v[68:69], s[8:9], v[84:85]
	;; [unrolled: 1-line block ×3, first 2 shown]
	s_delay_alu instid0(VALU_DEP_4) | instskip(SKIP_4) | instid1(VALU_DEP_2)
	v_fma_f64 v[96:97], v[92:93], s[2:3], v[82:83]
	v_fma_f64 v[88:89], v[90:91], s[2:3], v[80:81]
	;; [unrolled: 1-line block ×3, first 2 shown]
	v_mul_f64 v[62:63], v[60:61], s[8:9]
	v_mul_f64 v[60:61], v[60:61], 0.5
	v_fma_f64 v[66:67], v[64:65], 0.5, v[62:63]
	s_delay_alu instid0(VALU_DEP_2)
	v_fma_f64 v[94:95], v[64:65], s[2:3], v[60:61]
	v_fma_f64 v[64:65], v[90:91], s[8:9], v[80:81]
	v_fma_f64 v[90:91], v[92:93], s[8:9], v[82:83]
	v_mul_f64 v[80:81], v[86:87], s[8:9]
	v_mul_f64 v[82:83], v[86:87], -0.5
	v_add_f64 v[62:63], v[96:97], v[94:95]
	v_add_f64 v[60:61], v[64:65], v[66:67]
	v_add_f64 v[64:65], v[64:65], -v[66:67]
	v_fma_f64 v[84:85], v[68:69], -0.5, v[80:81]
	v_fma_f64 v[68:69], v[68:69], s[2:3], v[82:83]
	v_add_f64 v[66:67], v[96:97], -v[94:95]
	s_delay_alu instid0(VALU_DEP_3) | instskip(NEXT) | instid1(VALU_DEP_3)
	v_add_f64 v[80:81], v[88:89], v[84:85]
	v_add_f64 v[82:83], v[90:91], v[68:69]
	v_add_f64 v[84:85], v[88:89], -v[84:85]
	v_add_f64 v[86:87], v[90:91], -v[68:69]
	ds_store_b128 v159, v[72:75]
	ds_store_b128 v159, v[60:63] offset:960
	ds_store_b128 v159, v[80:83] offset:1920
	;; [unrolled: 1-line block ×5, first 2 shown]
	v_add_f64 v[60:61], v[48:49], v[56:57]
	v_add_f64 v[62:63], v[118:119], v[50:51]
	v_add_f64 v[78:79], v[50:51], -v[102:103]
	s_delay_alu instid0(VALU_DEP_3) | instskip(SKIP_1) | instid1(VALU_DEP_4)
	v_fma_f64 v[68:69], v[60:61], -0.5, v[116:117]
	v_add_f64 v[60:61], v[50:51], v[102:103]
	v_add_f64 v[66:67], v[62:63], v[102:103]
	s_delay_alu instid0(VALU_DEP_2) | instskip(SKIP_1) | instid1(VALU_DEP_1)
	v_fma_f64 v[72:73], v[60:61], -0.5, v[118:119]
	v_add_f64 v[60:61], v[116:117], v[48:49]
	v_add_f64 v[64:65], v[60:61], v[56:57]
	;; [unrolled: 1-line block ×3, first 2 shown]
	v_add_f64 v[56:57], v[48:49], -v[56:57]
	s_delay_alu instid0(VALU_DEP_2) | instskip(SKIP_1) | instid1(VALU_DEP_3)
	v_add_f64 v[74:75], v[60:61], v[100:101]
	v_add_f64 v[60:61], v[46:47], v[52:53]
	v_fma_f64 v[80:81], v[56:57], s[2:3], v[72:73]
	v_fma_f64 v[72:73], v[56:57], s[8:9], v[72:73]
	s_delay_alu instid0(VALU_DEP_3)
	v_add_f64 v[76:77], v[60:61], v[58:59]
	v_add_f64 v[60:61], v[64:65], v[74:75]
	v_add_f64 v[64:65], v[64:65], -v[74:75]
	v_add_f64 v[74:75], v[54:55], v[100:101]
	v_add_f64 v[54:55], v[54:55], -v[100:101]
	;; [unrolled: 2-line block ×4, first 2 shown]
	v_fma_f64 v[58:59], v[74:75], -0.5, v[44:45]
	s_delay_alu instid0(VALU_DEP_3) | instskip(NEXT) | instid1(VALU_DEP_2)
	v_fma_f64 v[76:77], v[76:77], -0.5, v[46:47]
	v_fma_f64 v[48:49], v[52:53], s[8:9], v[58:59]
	v_fma_f64 v[52:53], v[52:53], s[2:3], v[58:59]
	s_delay_alu instid0(VALU_DEP_3) | instskip(SKIP_1) | instid1(VALU_DEP_2)
	v_fma_f64 v[44:45], v[54:55], s[2:3], v[76:77]
	v_fma_f64 v[54:55], v[54:55], s[8:9], v[76:77]
	v_mul_f64 v[46:47], v[44:45], s[8:9]
	v_mul_f64 v[44:45], v[44:45], 0.5
	s_delay_alu instid0(VALU_DEP_3) | instskip(SKIP_1) | instid1(VALU_DEP_4)
	v_mul_f64 v[56:57], v[54:55], s[8:9]
	v_mul_f64 v[54:55], v[54:55], -0.5
	v_fma_f64 v[50:51], v[48:49], 0.5, v[46:47]
	s_delay_alu instid0(VALU_DEP_4)
	v_fma_f64 v[74:75], v[48:49], s[2:3], v[44:45]
	v_fma_f64 v[48:49], v[78:79], s[8:9], v[68:69]
	;; [unrolled: 1-line block ×3, first 2 shown]
	v_fma_f64 v[56:57], v[52:53], -0.5, v[56:57]
	v_fma_f64 v[58:59], v[52:53], s[2:3], v[54:55]
	v_add_f64 v[46:47], v[80:81], v[74:75]
	v_add_f64 v[44:45], v[48:49], v[50:51]
	v_add_f64 v[48:49], v[48:49], -v[50:51]
	v_add_f64 v[52:53], v[68:69], v[56:57]
	v_add_f64 v[54:55], v[72:73], v[58:59]
	v_add_f64 v[50:51], v[80:81], -v[74:75]
	v_add_f64 v[56:57], v[68:69], -v[56:57]
	v_add_f64 v[58:59], v[72:73], -v[58:59]
	ds_store_b128 v160, v[60:63]
	ds_store_b128 v160, v[44:47] offset:960
	ds_store_b128 v160, v[52:55] offset:1920
	;; [unrolled: 1-line block ×5, first 2 shown]
	v_add_f64 v[44:45], v[28:29], v[36:37]
	scratch_load_b32 v160, off, off offset:1368 ; 4-byte Folded Reload
	v_add_f64 v[46:47], v[122:123], v[30:31]
	v_fma_f64 v[52:53], v[44:45], -0.5, v[120:121]
	v_add_f64 v[44:45], v[30:31], v[38:39]
	s_delay_alu instid0(VALU_DEP_3) | instskip(SKIP_1) | instid1(VALU_DEP_3)
	v_add_f64 v[50:51], v[46:47], v[38:39]
	v_add_f64 v[38:39], v[30:31], -v[38:39]
	v_fma_f64 v[54:55], v[44:45], -0.5, v[122:123]
	v_add_f64 v[44:45], v[120:121], v[28:29]
	s_delay_alu instid0(VALU_DEP_1) | instskip(SKIP_2) | instid1(VALU_DEP_2)
	v_add_f64 v[48:49], v[44:45], v[36:37]
	v_add_f64 v[44:45], v[24:25], v[34:35]
	v_add_f64 v[36:37], v[28:29], -v[36:37]
	v_add_f64 v[56:57], v[44:45], v[42:43]
	v_add_f64 v[44:45], v[26:27], v[32:33]
	s_delay_alu instid0(VALU_DEP_1) | instskip(NEXT) | instid1(VALU_DEP_3)
	v_add_f64 v[58:59], v[44:45], v[40:41]
	v_add_f64 v[44:45], v[48:49], v[56:57]
	v_add_f64 v[48:49], v[48:49], -v[56:57]
	v_add_f64 v[56:57], v[34:35], v[42:43]
	v_add_f64 v[34:35], v[34:35], -v[42:43]
	;; [unrolled: 2-line block ×4, first 2 shown]
	v_fma_f64 v[58:59], v[36:37], s[2:3], v[54:55]
	v_fma_f64 v[40:41], v[56:57], -0.5, v[24:25]
	v_fma_f64 v[42:43], v[42:43], -0.5, v[26:27]
	s_delay_alu instid0(VALU_DEP_2) | instskip(SKIP_1) | instid1(VALU_DEP_3)
	v_fma_f64 v[28:29], v[32:33], s[8:9], v[40:41]
	v_fma_f64 v[32:33], v[32:33], s[2:3], v[40:41]
	;; [unrolled: 1-line block ×5, first 2 shown]
	s_delay_alu instid0(VALU_DEP_3) | instskip(SKIP_1) | instid1(VALU_DEP_4)
	v_mul_f64 v[26:27], v[24:25], s[8:9]
	v_mul_f64 v[24:25], v[24:25], 0.5
	v_mul_f64 v[36:37], v[34:35], s[8:9]
	v_mul_f64 v[34:35], v[34:35], -0.5
	s_delay_alu instid0(VALU_DEP_4) | instskip(NEXT) | instid1(VALU_DEP_4)
	v_fma_f64 v[30:31], v[28:29], 0.5, v[26:27]
	v_fma_f64 v[56:57], v[28:29], s[2:3], v[24:25]
	v_fma_f64 v[28:29], v[38:39], s[8:9], v[52:53]
	;; [unrolled: 1-line block ×3, first 2 shown]
	v_fma_f64 v[36:37], v[32:33], -0.5, v[36:37]
	v_fma_f64 v[40:41], v[32:33], s[2:3], v[34:35]
	v_add_f64 v[26:27], v[58:59], v[56:57]
	v_add_f64 v[24:25], v[28:29], v[30:31]
	v_add_f64 v[28:29], v[28:29], -v[30:31]
	v_add_f64 v[32:33], v[38:39], v[36:37]
	v_add_f64 v[34:35], v[42:43], v[40:41]
	v_add_f64 v[30:31], v[58:59], -v[56:57]
	v_add_f64 v[36:37], v[38:39], -v[36:37]
	;; [unrolled: 1-line block ×3, first 2 shown]
	s_waitcnt vmcnt(0)
	ds_store_b128 v160, v[44:47]
	ds_store_b128 v160, v[24:27] offset:960
	ds_store_b128 v160, v[32:35] offset:1920
	;; [unrolled: 1-line block ×5, first 2 shown]
	v_add_f64 v[24:25], v[8:9], v[16:17]
	scratch_load_b32 v160, off, off offset:1348 ; 4-byte Folded Reload
	v_fma_f64 v[28:29], v[24:25], -0.5, v[0:1]
	v_add_f64 v[24:25], v[10:11], v[18:19]
	v_add_f64 v[0:1], v[0:1], v[8:9]
	s_delay_alu instid0(VALU_DEP_2) | instskip(NEXT) | instid1(VALU_DEP_2)
	v_fma_f64 v[30:31], v[24:25], -0.5, v[2:3]
	v_add_f64 v[24:25], v[0:1], v[16:17]
	v_add_f64 v[0:1], v[70:71], v[14:15]
	;; [unrolled: 1-line block ×3, first 2 shown]
	v_add_f64 v[16:17], v[8:9], -v[16:17]
	s_delay_alu instid0(VALU_DEP_3) | instskip(SKIP_1) | instid1(VALU_DEP_4)
	v_add_f64 v[32:33], v[0:1], v[22:23]
	v_add_f64 v[0:1], v[6:7], v[12:13]
	;; [unrolled: 1-line block ×3, first 2 shown]
	v_add_f64 v[18:19], v[10:11], -v[18:19]
	v_fma_f64 v[36:37], v[16:17], s[2:3], v[30:31]
	s_delay_alu instid0(VALU_DEP_4)
	v_add_f64 v[34:35], v[0:1], v[20:21]
	v_add_f64 v[0:1], v[24:25], v[32:33]
	v_add_f64 v[24:25], v[24:25], -v[32:33]
	v_add_f64 v[32:33], v[14:15], v[22:23]
	v_add_f64 v[14:15], v[14:15], -v[22:23]
	;; [unrolled: 2-line block ×4, first 2 shown]
	v_fma_f64 v[32:33], v[32:33], -0.5, v[70:71]
	v_fma_f64 v[22:23], v[22:23], -0.5, v[6:7]
	s_delay_alu instid0(VALU_DEP_2) | instskip(NEXT) | instid1(VALU_DEP_2)
	v_fma_f64 v[9:10], v[20:21], s[8:9], v[32:33]
	v_fma_f64 v[5:6], v[14:15], s[2:3], v[22:23]
	v_fma_f64 v[13:14], v[14:15], s[8:9], v[22:23]
	v_fma_f64 v[22:23], v[16:17], s[8:9], v[30:31]
	v_fma_f64 v[15:16], v[20:21], s[2:3], v[32:33]
	s_delay_alu instid0(VALU_DEP_4) | instskip(SKIP_3) | instid1(VALU_DEP_4)
	v_mul_f64 v[7:8], v[5:6], s[8:9]
	v_mul_f64 v[5:6], v[5:6], 0.5
	v_mul_f64 v[20:21], v[13:14], s[8:9]
	v_mul_f64 v[13:14], v[13:14], -0.5
	v_fma_f64 v[11:12], v[9:10], 0.5, v[7:8]
	s_delay_alu instid0(VALU_DEP_4)
	v_fma_f64 v[34:35], v[9:10], s[2:3], v[5:6]
	v_fma_f64 v[9:10], v[18:19], s[8:9], v[28:29]
	;; [unrolled: 1-line block ×3, first 2 shown]
	v_fma_f64 v[20:21], v[15:16], -0.5, v[20:21]
	v_fma_f64 v[28:29], v[15:16], s[2:3], v[13:14]
	s_mul_i32 s8, s4, 0x1200
	v_add_f64 v[7:8], v[36:37], v[34:35]
	v_add_f64 v[5:6], v[9:10], v[11:12]
	v_add_f64 v[9:10], v[9:10], -v[11:12]
	v_add_f64 v[13:14], v[18:19], v[20:21]
	v_add_f64 v[15:16], v[22:23], v[28:29]
	v_add_f64 v[11:12], v[36:37], -v[34:35]
	v_add_f64 v[17:18], v[18:19], -v[20:21]
	;; [unrolled: 1-line block ×3, first 2 shown]
	s_waitcnt vmcnt(0)
	ds_store_b128 v160, v[0:3]
	ds_store_b128 v160, v[5:8] offset:960
	ds_store_b128 v160, v[13:16] offset:1920
	;; [unrolled: 1-line block ×5, first 2 shown]
	s_waitcnt lgkmcnt(0)
	s_barrier
	buffer_gl0_inv
	s_clause 0x1
	scratch_load_b128 v[7:10], off, off offset:1372
	scratch_load_b128 v[15:18], off, off offset:1388
	ds_load_b128 v[0:3], v4 offset:23040
	ds_load_b128 v[25:28], v4 offset:4608
	s_waitcnt vmcnt(1) lgkmcnt(1)
	v_mul_f64 v[5:6], v[9:10], v[2:3]
	s_delay_alu instid0(VALU_DEP_1) | instskip(SKIP_1) | instid1(VALU_DEP_1)
	v_fma_f64 v[5:6], v[7:8], v[0:1], v[5:6]
	v_mul_f64 v[0:1], v[9:10], v[0:1]
	v_fma_f64 v[7:8], v[7:8], v[2:3], -v[0:1]
	ds_load_b128 v[0:3], v4 offset:24576
	s_waitcnt vmcnt(0) lgkmcnt(0)
	v_mul_f64 v[9:10], v[17:18], v[2:3]
	s_delay_alu instid0(VALU_DEP_1)
	v_fma_f64 v[13:14], v[15:16], v[0:1], v[9:10]
	v_mul_f64 v[0:1], v[17:18], v[0:1]
	scratch_load_b128 v[17:20], off, off offset:1404 ; 16-byte Folded Reload
	v_fma_f64 v[15:16], v[15:16], v[2:3], -v[0:1]
	ds_load_b128 v[0:3], v4 offset:26112
	s_waitcnt vmcnt(0) lgkmcnt(0)
	v_mul_f64 v[9:10], v[19:20], v[2:3]
	s_delay_alu instid0(VALU_DEP_1) | instskip(SKIP_1) | instid1(VALU_DEP_1)
	v_fma_f64 v[21:22], v[17:18], v[0:1], v[9:10]
	v_mul_f64 v[0:1], v[19:20], v[0:1]
	v_fma_f64 v[23:24], v[17:18], v[2:3], -v[0:1]
	scratch_load_b128 v[17:20], off, off offset:1420 ; 16-byte Folded Reload
	ds_load_b128 v[0:3], v4 offset:27648
	s_waitcnt vmcnt(0) lgkmcnt(0)
	v_mul_f64 v[9:10], v[19:20], v[2:3]
	s_delay_alu instid0(VALU_DEP_1) | instskip(SKIP_1) | instid1(VALU_DEP_2)
	v_fma_f64 v[29:30], v[17:18], v[0:1], v[9:10]
	v_mul_f64 v[0:1], v[19:20], v[0:1]
	v_add_f64 v[29:30], v[25:26], -v[29:30]
	s_delay_alu instid0(VALU_DEP_2) | instskip(SKIP_4) | instid1(VALU_DEP_1)
	v_fma_f64 v[31:32], v[17:18], v[2:3], -v[0:1]
	scratch_load_b128 v[17:20], off, off offset:1436 ; 16-byte Folded Reload
	ds_load_b128 v[0:3], v4 offset:29184
	v_fma_f64 v[25:26], v[25:26], 2.0, -v[29:30]
	v_add_f64 v[31:32], v[27:28], -v[31:32]
	v_fma_f64 v[27:28], v[27:28], 2.0, -v[31:32]
	s_waitcnt vmcnt(0) lgkmcnt(0)
	v_mul_f64 v[9:10], v[19:20], v[2:3]
	s_delay_alu instid0(VALU_DEP_1) | instskip(SKIP_1) | instid1(VALU_DEP_1)
	v_fma_f64 v[77:78], v[17:18], v[0:1], v[9:10]
	v_mul_f64 v[0:1], v[19:20], v[0:1]
	v_fma_f64 v[79:80], v[17:18], v[2:3], -v[0:1]
	scratch_load_b128 v[17:20], off, off offset:1452 ; 16-byte Folded Reload
	ds_load_b128 v[0:3], v4 offset:30720
	s_waitcnt vmcnt(0) lgkmcnt(0)
	v_mul_f64 v[9:10], v[19:20], v[2:3]
	s_delay_alu instid0(VALU_DEP_1) | instskip(SKIP_1) | instid1(VALU_DEP_1)
	v_fma_f64 v[81:82], v[17:18], v[0:1], v[9:10]
	v_mul_f64 v[0:1], v[19:20], v[0:1]
	v_fma_f64 v[83:84], v[17:18], v[2:3], -v[0:1]
	scratch_load_b128 v[17:20], off, off offset:1468 ; 16-byte Folded Reload
	ds_load_b128 v[0:3], v4 offset:32256
	;; [unrolled: 8-line block ×10, first 2 shown]
	s_waitcnt vmcnt(0) lgkmcnt(0)
	v_mul_f64 v[9:10], v[19:20], v[2:3]
	s_delay_alu instid0(VALU_DEP_1)
	v_fma_f64 v[117:118], v[17:18], v[0:1], v[9:10]
	v_mul_f64 v[0:1], v[19:20], v[0:1]
	ds_load_b128 v[9:12], v4 offset:1536
	s_waitcnt lgkmcnt(0)
	v_add_f64 v[13:14], v[9:10], -v[13:14]
	v_add_f64 v[15:16], v[11:12], -v[15:16]
	v_fma_f64 v[119:120], v[17:18], v[2:3], -v[0:1]
	ds_load_b128 v[0:3], v4
	ds_load_b128 v[17:20], v4 offset:3072
	ds_load_b128 v[33:36], v4 offset:21504
	;; [unrolled: 1-line block ×12, first 2 shown]
	s_waitcnt lgkmcnt(0)
	s_barrier
	buffer_gl0_inv
	v_add_f64 v[5:6], v[0:1], -v[5:6]
	v_add_f64 v[7:8], v[2:3], -v[7:8]
	;; [unrolled: 1-line block ×4, first 2 shown]
	v_fma_f64 v[9:10], v[9:10], 2.0, -v[13:14]
	v_fma_f64 v[11:12], v[11:12], 2.0, -v[15:16]
	;; [unrolled: 1-line block ×6, first 2 shown]
	ds_store_b128 v4, v[5:8] offset:5760
	ds_store_b128 v4, v[13:16] offset:7296
	;; [unrolled: 1-line block ×3, first 2 shown]
	ds_store_b128 v4, v[0:3]
	ds_store_b128 v4, v[9:12] offset:1536
	ds_store_b128 v4, v[17:20] offset:3072
	scratch_load_b32 v0, off, off offset:1648 ; 4-byte Folded Reload
	s_waitcnt vmcnt(0)
	ds_store_b128 v0, v[25:28]
	ds_store_b128 v0, v[29:32] offset:5760
	v_add_f64 v[0:1], v[37:38], -v[77:78]
	v_add_f64 v[2:3], v[39:40], -v[79:80]
	v_add_f64 v[9:10], v[41:42], -v[81:82]
	v_add_f64 v[11:12], v[43:44], -v[83:84]
	v_add_f64 v[17:18], v[45:46], -v[85:86]
	v_add_f64 v[19:20], v[47:48], -v[87:88]
	v_add_f64 v[25:26], v[49:50], -v[89:90]
	v_add_f64 v[27:28], v[51:52], -v[91:92]
	v_fma_f64 v[5:6], v[37:38], 2.0, -v[0:1]
	v_fma_f64 v[7:8], v[39:40], 2.0, -v[2:3]
	;; [unrolled: 1-line block ×6, first 2 shown]
	ds_store_b128 v4, v[5:8] offset:11904
	ds_store_b128 v4, v[13:16] offset:13440
	;; [unrolled: 1-line block ×6, first 2 shown]
	scratch_load_b32 v0, off, off offset:1628 ; 4-byte Folded Reload
	v_fma_f64 v[29:30], v[49:50], 2.0, -v[25:26]
	v_fma_f64 v[31:32], v[51:52], 2.0, -v[27:28]
	s_waitcnt vmcnt(0)
	ds_store_b128 v0, v[29:32]
	ds_store_b128 v0, v[25:28] offset:5760
	scratch_load_b32 v9, off, off offset:1624 ; 4-byte Folded Reload
	v_add_f64 v[0:1], v[53:54], -v[93:94]
	v_add_f64 v[2:3], v[55:56], -v[95:96]
	s_delay_alu instid0(VALU_DEP_2) | instskip(NEXT) | instid1(VALU_DEP_2)
	v_fma_f64 v[5:6], v[53:54], 2.0, -v[0:1]
	v_fma_f64 v[7:8], v[55:56], 2.0, -v[2:3]
	s_waitcnt vmcnt(0)
	ds_store_b128 v9, v[5:8] offset:23040
	ds_store_b128 v9, v[0:3] offset:28800
	scratch_load_b32 v9, off, off offset:1620 ; 4-byte Folded Reload
	v_add_f64 v[0:1], v[57:58], -v[97:98]
	v_add_f64 v[2:3], v[59:60], -v[99:100]
	s_delay_alu instid0(VALU_DEP_2) | instskip(NEXT) | instid1(VALU_DEP_2)
	v_fma_f64 v[5:6], v[57:58], 2.0, -v[0:1]
	v_fma_f64 v[7:8], v[59:60], 2.0, -v[2:3]
	s_waitcnt vmcnt(0)
	ds_store_b128 v9, v[5:8] offset:23040
	;; [unrolled: 9-line block ×3, first 2 shown]
	ds_store_b128 v9, v[0:3] offset:28800
	scratch_load_b32 v9, off, off offset:1612 ; 4-byte Folded Reload
	v_add_f64 v[0:1], v[65:66], -v[105:106]
	v_add_f64 v[2:3], v[67:68], -v[107:108]
	s_delay_alu instid0(VALU_DEP_2) | instskip(NEXT) | instid1(VALU_DEP_2)
	v_fma_f64 v[5:6], v[65:66], 2.0, -v[0:1]
	v_fma_f64 v[7:8], v[67:68], 2.0, -v[2:3]
	s_waitcnt vmcnt(0)
	ds_store_b128 v9, v[5:8]
	ds_store_b128 v9, v[0:3] offset:5760
	scratch_load_b32 v9, off, off offset:1608 ; 4-byte Folded Reload
	v_add_f64 v[0:1], v[69:70], -v[109:110]
	v_add_f64 v[2:3], v[71:72], -v[111:112]
	s_delay_alu instid0(VALU_DEP_2) | instskip(NEXT) | instid1(VALU_DEP_2)
	v_fma_f64 v[5:6], v[69:70], 2.0, -v[0:1]
	v_fma_f64 v[7:8], v[71:72], 2.0, -v[2:3]
	s_waitcnt vmcnt(0)
	ds_store_b128 v9, v[5:8] offset:34560
	ds_store_b128 v9, v[0:3] offset:40320
	scratch_load_b32 v9, off, off offset:1588 ; 4-byte Folded Reload
	v_add_f64 v[0:1], v[73:74], -v[113:114]
	v_add_f64 v[2:3], v[75:76], -v[115:116]
	s_delay_alu instid0(VALU_DEP_2) | instskip(NEXT) | instid1(VALU_DEP_2)
	v_fma_f64 v[5:6], v[73:74], 2.0, -v[0:1]
	v_fma_f64 v[7:8], v[75:76], 2.0, -v[2:3]
	s_waitcnt vmcnt(0)
	ds_store_b128 v9, v[5:8] offset:34560
	ds_store_b128 v9, v[0:3] offset:40320
	scratch_load_b32 v9, off, off offset:1584 ; 4-byte Folded Reload
	v_add_f64 v[0:1], v[33:34], -v[117:118]
	v_add_f64 v[2:3], v[35:36], -v[119:120]
	s_delay_alu instid0(VALU_DEP_2) | instskip(NEXT) | instid1(VALU_DEP_2)
	v_fma_f64 v[5:6], v[33:34], 2.0, -v[0:1]
	v_fma_f64 v[7:8], v[35:36], 2.0, -v[2:3]
	s_waitcnt vmcnt(0)
	ds_store_b128 v9, v[5:8] offset:34560
	ds_store_b128 v9, v[0:3] offset:40320
	s_waitcnt lgkmcnt(0)
	s_barrier
	buffer_gl0_inv
	s_clause 0x1
	scratch_load_b128 v[7:10], off, off offset:1652
	scratch_load_b128 v[15:18], off, off offset:1668
	ds_load_b128 v[0:3], v4 offset:23040
	ds_load_b128 v[57:60], v4 offset:10752
	;; [unrolled: 1-line block ×6, first 2 shown]
	s_waitcnt vmcnt(1) lgkmcnt(5)
	v_mul_f64 v[5:6], v[9:10], v[2:3]
	s_delay_alu instid0(VALU_DEP_1) | instskip(SKIP_1) | instid1(VALU_DEP_1)
	v_fma_f64 v[5:6], v[7:8], v[0:1], v[5:6]
	v_mul_f64 v[0:1], v[9:10], v[0:1]
	v_fma_f64 v[7:8], v[7:8], v[2:3], -v[0:1]
	ds_load_b128 v[0:3], v4 offset:24576
	s_waitcnt vmcnt(0) lgkmcnt(0)
	v_mul_f64 v[9:10], v[17:18], v[2:3]
	s_delay_alu instid0(VALU_DEP_1)
	v_fma_f64 v[13:14], v[15:16], v[0:1], v[9:10]
	v_mul_f64 v[0:1], v[17:18], v[0:1]
	scratch_load_b128 v[17:20], off, off offset:1684 ; 16-byte Folded Reload
	v_fma_f64 v[15:16], v[15:16], v[2:3], -v[0:1]
	ds_load_b128 v[0:3], v4 offset:26112
	s_waitcnt vmcnt(0) lgkmcnt(0)
	v_mul_f64 v[9:10], v[19:20], v[2:3]
	s_delay_alu instid0(VALU_DEP_1) | instskip(SKIP_1) | instid1(VALU_DEP_1)
	v_fma_f64 v[21:22], v[17:18], v[0:1], v[9:10]
	v_mul_f64 v[0:1], v[19:20], v[0:1]
	v_fma_f64 v[23:24], v[17:18], v[2:3], -v[0:1]
	scratch_load_b128 v[17:20], off, off offset:1700 ; 16-byte Folded Reload
	ds_load_b128 v[0:3], v4 offset:27648
	s_waitcnt vmcnt(0) lgkmcnt(0)
	v_mul_f64 v[9:10], v[19:20], v[2:3]
	s_delay_alu instid0(VALU_DEP_1) | instskip(SKIP_1) | instid1(VALU_DEP_2)
	v_fma_f64 v[29:30], v[17:18], v[0:1], v[9:10]
	v_mul_f64 v[0:1], v[19:20], v[0:1]
	v_add_f64 v[29:30], v[25:26], -v[29:30]
	s_delay_alu instid0(VALU_DEP_2)
	v_fma_f64 v[31:32], v[17:18], v[2:3], -v[0:1]
	ds_load_b128 v[0:3], v4 offset:29184
	ds_load_b128 v[17:20], v4 offset:3072
	s_waitcnt lgkmcnt(1)
	v_mul_f64 v[9:10], v[254:255], v[2:3]
	s_waitcnt lgkmcnt(0)
	v_add_f64 v[21:22], v[17:18], -v[21:22]
	v_add_f64 v[23:24], v[19:20], -v[23:24]
	v_fma_f64 v[25:26], v[25:26], 2.0, -v[29:30]
	v_add_f64 v[31:32], v[27:28], -v[31:32]
	v_fma_f64 v[37:38], v[252:253], v[0:1], v[9:10]
	v_mul_f64 v[0:1], v[254:255], v[0:1]
	v_fma_f64 v[17:18], v[17:18], 2.0, -v[21:22]
	v_fma_f64 v[19:20], v[19:20], 2.0, -v[23:24]
	;; [unrolled: 1-line block ×3, first 2 shown]
	v_add_f64 v[37:38], v[33:34], -v[37:38]
	v_fma_f64 v[39:40], v[252:253], v[2:3], -v[0:1]
	ds_load_b128 v[0:3], v4 offset:30720
	s_waitcnt lgkmcnt(0)
	v_mul_f64 v[9:10], v[250:251], v[2:3]
	v_fma_f64 v[33:34], v[33:34], 2.0, -v[37:38]
	v_add_f64 v[39:40], v[35:36], -v[39:40]
	s_delay_alu instid0(VALU_DEP_3) | instskip(SKIP_1) | instid1(VALU_DEP_3)
	v_fma_f64 v[45:46], v[248:249], v[0:1], v[9:10]
	v_mul_f64 v[0:1], v[250:251], v[0:1]
	v_fma_f64 v[35:36], v[35:36], 2.0, -v[39:40]
	s_delay_alu instid0(VALU_DEP_3) | instskip(NEXT) | instid1(VALU_DEP_3)
	v_add_f64 v[45:46], v[41:42], -v[45:46]
	v_fma_f64 v[47:48], v[248:249], v[2:3], -v[0:1]
	ds_load_b128 v[0:3], v4 offset:32256
	s_waitcnt lgkmcnt(0)
	v_mul_f64 v[9:10], v[238:239], v[2:3]
	v_fma_f64 v[41:42], v[41:42], 2.0, -v[45:46]
	v_add_f64 v[47:48], v[43:44], -v[47:48]
	s_delay_alu instid0(VALU_DEP_3) | instskip(SKIP_1) | instid1(VALU_DEP_3)
	v_fma_f64 v[53:54], v[236:237], v[0:1], v[9:10]
	v_mul_f64 v[0:1], v[238:239], v[0:1]
	v_fma_f64 v[43:44], v[43:44], 2.0, -v[47:48]
	s_delay_alu instid0(VALU_DEP_3) | instskip(NEXT) | instid1(VALU_DEP_3)
	;; [unrolled: 12-line block ×3, first 2 shown]
	v_add_f64 v[61:62], v[57:58], -v[61:62]
	v_fma_f64 v[63:64], v[220:221], v[2:3], -v[0:1]
	ds_load_b128 v[0:3], v4 offset:35328
	s_waitcnt lgkmcnt(0)
	v_mul_f64 v[9:10], v[214:215], v[2:3]
	v_fma_f64 v[57:58], v[57:58], 2.0, -v[61:62]
	v_add_f64 v[63:64], v[59:60], -v[63:64]
	s_delay_alu instid0(VALU_DEP_3) | instskip(SKIP_1) | instid1(VALU_DEP_3)
	v_fma_f64 v[93:94], v[212:213], v[0:1], v[9:10]
	v_mul_f64 v[0:1], v[214:215], v[0:1]
	v_fma_f64 v[59:60], v[59:60], 2.0, -v[63:64]
	s_delay_alu instid0(VALU_DEP_2) | instskip(SKIP_3) | instid1(VALU_DEP_1)
	v_fma_f64 v[95:96], v[212:213], v[2:3], -v[0:1]
	ds_load_b128 v[0:3], v4 offset:36864
	s_waitcnt lgkmcnt(0)
	v_mul_f64 v[9:10], v[218:219], v[2:3]
	v_fma_f64 v[97:98], v[216:217], v[0:1], v[9:10]
	v_mul_f64 v[0:1], v[218:219], v[0:1]
	s_delay_alu instid0(VALU_DEP_1) | instskip(SKIP_3) | instid1(VALU_DEP_1)
	v_fma_f64 v[99:100], v[216:217], v[2:3], -v[0:1]
	ds_load_b128 v[0:3], v4 offset:38400
	s_waitcnt lgkmcnt(0)
	v_mul_f64 v[9:10], v[206:207], v[2:3]
	v_fma_f64 v[101:102], v[204:205], v[0:1], v[9:10]
	v_mul_f64 v[0:1], v[206:207], v[0:1]
	s_delay_alu instid0(VALU_DEP_1) | instskip(SKIP_3) | instid1(VALU_DEP_1)
	;; [unrolled: 7-line block ×5, first 2 shown]
	v_fma_f64 v[115:116], v[196:197], v[2:3], -v[0:1]
	ds_load_b128 v[0:3], v4 offset:44544
	s_waitcnt lgkmcnt(0)
	v_mul_f64 v[9:10], v[194:195], v[2:3]
	v_fma_f64 v[117:118], v[192:193], v[0:1], v[9:10]
	v_mul_f64 v[0:1], v[194:195], v[0:1]
	ds_load_b128 v[9:12], v4 offset:1536
	s_waitcnt lgkmcnt(0)
	v_add_f64 v[13:14], v[9:10], -v[13:14]
	v_add_f64 v[15:16], v[11:12], -v[15:16]
	v_fma_f64 v[119:120], v[192:193], v[2:3], -v[0:1]
	ds_load_b128 v[0:3], v4
	ds_load_b128 v[65:68], v4 offset:21504
	ds_load_b128 v[69:72], v4 offset:12288
	;; [unrolled: 1-line block ×7, first 2 shown]
	s_waitcnt lgkmcnt(0)
	s_barrier
	buffer_gl0_inv
	v_add_f64 v[5:6], v[0:1], -v[5:6]
	v_add_f64 v[7:8], v[2:3], -v[7:8]
	v_fma_f64 v[9:10], v[9:10], 2.0, -v[13:14]
	v_fma_f64 v[11:12], v[11:12], 2.0, -v[15:16]
	s_delay_alu instid0(VALU_DEP_4) | instskip(NEXT) | instid1(VALU_DEP_4)
	v_fma_f64 v[0:1], v[0:1], 2.0, -v[5:6]
	v_fma_f64 v[2:3], v[2:3], 2.0, -v[7:8]
	ds_store_b128 v4, v[5:8] offset:11520
	ds_store_b128 v4, v[13:16] offset:13056
	;; [unrolled: 1-line block ×7, first 2 shown]
	ds_store_b128 v4, v[0:3]
	ds_store_b128 v4, v[9:12] offset:1536
	ds_store_b128 v4, v[17:20] offset:3072
	;; [unrolled: 1-line block ×6, first 2 shown]
	scratch_load_b32 v0, off, off offset:1716 ; 4-byte Folded Reload
	s_waitcnt vmcnt(0)
	ds_store_b128 v0, v[57:60]
	ds_store_b128 v0, v[61:64] offset:11520
	v_add_f64 v[0:1], v[69:70], -v[93:94]
	v_add_f64 v[2:3], v[71:72], -v[95:96]
	;; [unrolled: 1-line block ×14, first 2 shown]
	v_fma_f64 v[5:6], v[69:70], 2.0, -v[0:1]
	v_fma_f64 v[7:8], v[71:72], 2.0, -v[2:3]
	;; [unrolled: 1-line block ×14, first 2 shown]
	ds_store_b128 v4, v[5:8] offset:23808
	ds_store_b128 v4, v[13:16] offset:25344
	;; [unrolled: 1-line block ×14, first 2 shown]
	s_waitcnt lgkmcnt(0)
	s_barrier
	buffer_gl0_inv
	ds_load_b128 v[0:3], v4 offset:23040
	ds_load_b128 v[96:99], v4 offset:21504
	;; [unrolled: 1-line block ×4, first 2 shown]
	s_waitcnt lgkmcnt(3)
	v_mul_f64 v[5:6], v[246:247], v[2:3]
	s_delay_alu instid0(VALU_DEP_1) | instskip(SKIP_1) | instid1(VALU_DEP_1)
	v_fma_f64 v[5:6], v[244:245], v[0:1], v[5:6]
	v_mul_f64 v[0:1], v[246:247], v[0:1]
	v_fma_f64 v[7:8], v[244:245], v[2:3], -v[0:1]
	ds_load_b128 v[0:3], v4 offset:24576
	s_waitcnt lgkmcnt(0)
	v_mul_f64 v[9:10], v[234:235], v[2:3]
	s_delay_alu instid0(VALU_DEP_1) | instskip(SKIP_1) | instid1(VALU_DEP_1)
	v_fma_f64 v[9:10], v[232:233], v[0:1], v[9:10]
	v_mul_f64 v[0:1], v[234:235], v[0:1]
	v_fma_f64 v[11:12], v[232:233], v[2:3], -v[0:1]
	ds_load_b128 v[0:3], v4 offset:26112
	;; [unrolled: 7-line block ×12, first 2 shown]
	s_waitcnt lgkmcnt(0)
	v_mul_f64 v[31:32], v[152:153], v[2:3]
	s_delay_alu instid0(VALU_DEP_1) | instskip(SKIP_1) | instid1(VALU_DEP_2)
	v_fma_f64 v[84:85], v[150:151], v[0:1], v[31:32]
	v_mul_f64 v[0:1], v[152:153], v[0:1]
	v_add_f64 v[84:85], v[80:81], -v[84:85]
	s_delay_alu instid0(VALU_DEP_2)
	v_fma_f64 v[86:87], v[150:151], v[2:3], -v[0:1]
	ds_load_b128 v[0:3], v4 offset:43008
	s_waitcnt lgkmcnt(0)
	v_mul_f64 v[31:32], v[148:149], v[2:3]
	v_fma_f64 v[80:81], v[80:81], 2.0, -v[84:85]
	v_add_f64 v[86:87], v[82:83], -v[86:87]
	s_delay_alu instid0(VALU_DEP_3) | instskip(SKIP_1) | instid1(VALU_DEP_3)
	v_fma_f64 v[92:93], v[146:147], v[0:1], v[31:32]
	v_mul_f64 v[0:1], v[148:149], v[0:1]
	v_fma_f64 v[82:83], v[82:83], 2.0, -v[86:87]
	s_delay_alu instid0(VALU_DEP_3) | instskip(NEXT) | instid1(VALU_DEP_3)
	v_add_f64 v[92:93], v[88:89], -v[92:93]
	v_fma_f64 v[94:95], v[146:147], v[2:3], -v[0:1]
	ds_load_b128 v[0:3], v4 offset:44544
	s_waitcnt lgkmcnt(0)
	v_mul_f64 v[31:32], v[242:243], v[2:3]
	v_fma_f64 v[88:89], v[88:89], 2.0, -v[92:93]
	v_add_f64 v[94:95], v[90:91], -v[94:95]
	s_delay_alu instid0(VALU_DEP_3) | instskip(SKIP_1) | instid1(VALU_DEP_3)
	v_fma_f64 v[100:101], v[240:241], v[0:1], v[31:32]
	v_mul_f64 v[0:1], v[242:243], v[0:1]
	v_fma_f64 v[90:91], v[90:91], 2.0, -v[94:95]
	s_delay_alu instid0(VALU_DEP_3) | instskip(NEXT) | instid1(VALU_DEP_3)
	v_add_f64 v[100:101], v[96:97], -v[100:101]
	v_fma_f64 v[102:103], v[240:241], v[2:3], -v[0:1]
	ds_load_b128 v[0:3], v4
	s_waitcnt lgkmcnt(0)
	v_add_f64 v[112:113], v[0:1], -v[5:6]
	v_add_f64 v[114:115], v[2:3], -v[7:8]
	ds_load_b128 v[5:8], v4 offset:1536
	v_fma_f64 v[96:97], v[96:97], 2.0, -v[100:101]
	v_add_f64 v[102:103], v[98:99], -v[102:103]
	s_waitcnt lgkmcnt(0)
	v_add_f64 v[118:119], v[7:8], -v[11:12]
	v_add_f64 v[116:117], v[5:6], -v[9:10]
	v_fma_f64 v[0:1], v[0:1], 2.0, -v[112:113]
	v_fma_f64 v[2:3], v[2:3], 2.0, -v[114:115]
	;; [unrolled: 1-line block ×4, first 2 shown]
	ds_load_b128 v[8:11], v4 offset:3072
	v_fma_f64 v[108:109], v[5:6], 2.0, -v[116:117]
	s_waitcnt lgkmcnt(0)
	v_add_f64 v[120:121], v[8:9], -v[13:14]
	v_add_f64 v[122:123], v[10:11], -v[15:16]
	ds_load_b128 v[12:15], v4 offset:4608
	s_waitcnt lgkmcnt(0)
	v_add_f64 v[104:105], v[12:13], -v[17:18]
	v_add_f64 v[106:107], v[14:15], -v[19:20]
	ds_load_b128 v[16:19], v4 offset:6144
	v_fma_f64 v[8:9], v[8:9], 2.0, -v[120:121]
	v_fma_f64 v[10:11], v[10:11], 2.0, -v[122:123]
	s_waitcnt lgkmcnt(0)
	v_add_f64 v[32:33], v[16:17], -v[21:22]
	v_add_f64 v[34:35], v[18:19], -v[23:24]
	ds_load_b128 v[20:23], v4 offset:7680
	v_fma_f64 v[12:13], v[12:13], 2.0, -v[104:105]
	v_fma_f64 v[14:15], v[14:15], 2.0, -v[106:107]
	;; [unrolled: 6-line block ×3, first 2 shown]
	s_waitcnt lgkmcnt(0)
	v_add_f64 v[48:49], v[24:25], -v[29:30]
	ds_load_b128 v[28:31], v4 offset:10752
	v_add_f64 v[50:51], v[26:27], -v[36:37]
	v_fma_f64 v[20:21], v[20:21], 2.0, -v[40:41]
	v_fma_f64 v[22:23], v[22:23], 2.0, -v[42:43]
	s_waitcnt lgkmcnt(0)
	v_add_f64 v[56:57], v[28:29], -v[38:39]
	ds_load_b128 v[36:39], v4 offset:12288
	v_add_f64 v[58:59], v[30:31], -v[44:45]
	v_fma_f64 v[24:25], v[24:25], 2.0, -v[48:49]
	v_fma_f64 v[26:27], v[26:27], 2.0, -v[50:51]
	;; [unrolled: 6-line block ×5, first 2 shown]
	s_waitcnt lgkmcnt(0)
	v_add_f64 v[76:77], v[64:65], -v[76:77]
	v_add_f64 v[78:79], v[66:67], -v[78:79]
	v_fma_f64 v[52:53], v[52:53], 2.0, -v[72:73]
	v_fma_f64 v[54:55], v[54:55], 2.0, -v[74:75]
	s_delay_alu instid0(VALU_DEP_4) | instskip(NEXT) | instid1(VALU_DEP_4)
	v_fma_f64 v[64:65], v[64:65], 2.0, -v[76:77]
	v_fma_f64 v[66:67], v[66:67], 2.0, -v[78:79]
	ds_store_b128 v4, v[112:115] offset:23040
	ds_store_b128 v4, v[116:119] offset:24576
	;; [unrolled: 1-line block ×15, first 2 shown]
	ds_store_b128 v4, v[0:3]
	ds_store_b128 v4, v[108:111] offset:1536
	ds_store_b128 v4, v[8:11] offset:3072
	ds_store_b128 v4, v[12:15] offset:4608
	ds_store_b128 v4, v[16:19] offset:6144
	ds_store_b128 v4, v[20:23] offset:7680
	ds_store_b128 v4, v[24:27] offset:9216
	ds_store_b128 v4, v[28:31] offset:10752
	ds_store_b128 v4, v[36:39] offset:12288
	ds_store_b128 v4, v[44:47] offset:13824
	ds_store_b128 v4, v[52:55] offset:15360
	ds_store_b128 v4, v[64:67] offset:16896
	ds_store_b128 v4, v[80:83] offset:18432
	ds_store_b128 v4, v[88:91] offset:19968
	ds_store_b128 v4, v[96:99] offset:21504
	s_waitcnt lgkmcnt(0)
	s_barrier
	buffer_gl0_inv
	s_clause 0x5
	scratch_load_b128 v[7:10], off, off offset:184
	scratch_load_b128 v[107:110], off, off offset:200
	;; [unrolled: 1-line block ×6, first 2 shown]
	ds_load_b128 v[0:3], v4
	s_clause 0x17
	scratch_load_b128 v[23:26], off, off offset:120
	scratch_load_b128 v[99:102], off, off offset:136
	scratch_load_b128 v[27:30], off, off offset:424
	scratch_load_b128 v[63:66], off, off offset:408
	scratch_load_b128 v[31:34], off, off offset:472
	scratch_load_b128 v[35:38], off, off offset:488
	scratch_load_b128 v[39:42], off, off offset:104
	scratch_load_b128 v[51:54], off, off offset:88
	scratch_load_b128 v[43:46], off, off offset:440
	scratch_load_b128 v[47:50], off, off offset:456
	scratch_load_b128 v[55:58], off, off offset:376
	scratch_load_b128 v[59:62], off, off offset:392
	scratch_load_b128 v[67:70], off, off offset:72
	scratch_load_b128 v[83:86], off, off offset:56
	scratch_load_b128 v[75:78], off, off offset:312
	scratch_load_b128 v[79:82], off, off offset:328
	scratch_load_b128 v[87:90], off, off offset:264
	scratch_load_b128 v[123:126], off, off offset:248
	scratch_load_b128 v[91:94], off, off offset:232
	scratch_load_b128 v[119:122], off, off offset:216
	scratch_load_b128 v[95:98], off, off offset:40
	scratch_load_b128 v[111:114], off, off offset:24
	scratch_load_b128 v[103:106], off, off offset:152
	scratch_load_b128 v[115:118], off, off offset:168
	s_waitcnt vmcnt(29) lgkmcnt(0)
	v_mul_f64 v[5:6], v[9:10], v[2:3]
	s_delay_alu instid0(VALU_DEP_1) | instskip(SKIP_1) | instid1(VALU_DEP_1)
	v_fma_f64 v[5:6], v[7:8], v[0:1], v[5:6]
	v_mul_f64 v[0:1], v[9:10], v[0:1]
	v_fma_f64 v[7:8], v[7:8], v[2:3], -v[0:1]
	ds_load_b128 v[0:3], v4 offset:4608
	s_waitcnt vmcnt(27) lgkmcnt(0)
	v_mul_f64 v[9:10], v[13:14], v[2:3]
	s_delay_alu instid0(VALU_DEP_1) | instskip(SKIP_1) | instid1(VALU_DEP_1)
	v_fma_f64 v[9:10], v[11:12], v[0:1], v[9:10]
	v_mul_f64 v[0:1], v[13:14], v[0:1]
	v_fma_f64 v[11:12], v[11:12], v[2:3], -v[0:1]
	ds_load_b128 v[0:3], v4 offset:9216
	;; [unrolled: 7-line block ×11, first 2 shown]
	s_waitcnt lgkmcnt(0)
	v_mul_f64 v[49:50], v[53:54], v[2:3]
	s_delay_alu instid0(VALU_DEP_1) | instskip(SKIP_1) | instid1(VALU_DEP_1)
	v_fma_f64 v[49:50], v[51:52], v[0:1], v[49:50]
	v_mul_f64 v[0:1], v[53:54], v[0:1]
	v_fma_f64 v[51:52], v[51:52], v[2:3], -v[0:1]
	ds_load_b128 v[0:3], v4 offset:10752
	s_waitcnt vmcnt(13) lgkmcnt(0)
	v_mul_f64 v[53:54], v[57:58], v[2:3]
	s_delay_alu instid0(VALU_DEP_1) | instskip(SKIP_1) | instid1(VALU_DEP_1)
	v_fma_f64 v[53:54], v[55:56], v[0:1], v[53:54]
	v_mul_f64 v[0:1], v[57:58], v[0:1]
	v_fma_f64 v[55:56], v[55:56], v[2:3], -v[0:1]
	ds_load_b128 v[0:3], v4 offset:15360
	s_waitcnt vmcnt(12) lgkmcnt(0)
	v_mul_f64 v[57:58], v[61:62], v[2:3]
	s_delay_alu instid0(VALU_DEP_1) | instskip(SKIP_1) | instid1(VALU_DEP_1)
	v_fma_f64 v[57:58], v[59:60], v[0:1], v[57:58]
	v_mul_f64 v[0:1], v[61:62], v[0:1]
	v_fma_f64 v[59:60], v[59:60], v[2:3], -v[0:1]
	ds_load_b128 v[0:3], v4 offset:19968
	s_waitcnt lgkmcnt(0)
	v_mul_f64 v[61:62], v[65:66], v[2:3]
	s_delay_alu instid0(VALU_DEP_1) | instskip(SKIP_1) | instid1(VALU_DEP_1)
	v_fma_f64 v[61:62], v[63:64], v[0:1], v[61:62]
	v_mul_f64 v[0:1], v[65:66], v[0:1]
	v_fma_f64 v[63:64], v[63:64], v[2:3], -v[0:1]
	ds_load_b128 v[0:3], v4 offset:24576
	s_waitcnt vmcnt(11) lgkmcnt(0)
	v_mul_f64 v[65:66], v[69:70], v[2:3]
	s_delay_alu instid0(VALU_DEP_1) | instskip(SKIP_1) | instid1(VALU_DEP_1)
	v_fma_f64 v[65:66], v[67:68], v[0:1], v[65:66]
	v_mul_f64 v[0:1], v[69:70], v[0:1]
	v_fma_f64 v[67:68], v[67:68], v[2:3], -v[0:1]
	ds_load_b128 v[0:3], v4 offset:29184
	s_waitcnt lgkmcnt(0)
	v_mul_f64 v[69:70], v[73:74], v[2:3]
	s_delay_alu instid0(VALU_DEP_1) | instskip(SKIP_1) | instid1(VALU_DEP_1)
	v_fma_f64 v[69:70], v[71:72], v[0:1], v[69:70]
	v_mul_f64 v[0:1], v[73:74], v[0:1]
	v_fma_f64 v[71:72], v[71:72], v[2:3], -v[0:1]
	ds_load_b128 v[0:3], v4 offset:33792
	s_waitcnt vmcnt(9) lgkmcnt(0)
	v_mul_f64 v[73:74], v[77:78], v[2:3]
	s_delay_alu instid0(VALU_DEP_1) | instskip(SKIP_1) | instid1(VALU_DEP_1)
	v_fma_f64 v[73:74], v[75:76], v[0:1], v[73:74]
	v_mul_f64 v[0:1], v[77:78], v[0:1]
	v_fma_f64 v[75:76], v[75:76], v[2:3], -v[0:1]
	ds_load_b128 v[0:3], v4 offset:38400
	s_waitcnt vmcnt(8) lgkmcnt(0)
	v_mul_f64 v[77:78], v[81:82], v[2:3]
	s_delay_alu instid0(VALU_DEP_1) | instskip(SKIP_1) | instid1(VALU_DEP_1)
	v_fma_f64 v[77:78], v[79:80], v[0:1], v[77:78]
	v_mul_f64 v[0:1], v[81:82], v[0:1]
	v_fma_f64 v[79:80], v[79:80], v[2:3], -v[0:1]
	ds_load_b128 v[0:3], v4 offset:43008
	s_waitcnt lgkmcnt(0)
	v_mul_f64 v[81:82], v[85:86], v[2:3]
	s_delay_alu instid0(VALU_DEP_1) | instskip(SKIP_1) | instid1(VALU_DEP_1)
	v_fma_f64 v[81:82], v[83:84], v[0:1], v[81:82]
	v_mul_f64 v[0:1], v[85:86], v[0:1]
	v_fma_f64 v[83:84], v[83:84], v[2:3], -v[0:1]
	ds_load_b128 v[0:3], v4 offset:3072
	s_waitcnt vmcnt(7) lgkmcnt(0)
	v_mul_f64 v[85:86], v[89:90], v[2:3]
	s_delay_alu instid0(VALU_DEP_1) | instskip(SKIP_1) | instid1(VALU_DEP_1)
	v_fma_f64 v[85:86], v[87:88], v[0:1], v[85:86]
	v_mul_f64 v[0:1], v[89:90], v[0:1]
	v_fma_f64 v[87:88], v[87:88], v[2:3], -v[0:1]
	ds_load_b128 v[0:3], v4 offset:7680
	s_waitcnt vmcnt(5) lgkmcnt(0)
	;; [unrolled: 7-line block ×3, first 2 shown]
	v_mul_f64 v[93:94], v[97:98], v[2:3]
	s_delay_alu instid0(VALU_DEP_1) | instskip(SKIP_1) | instid1(VALU_DEP_1)
	v_fma_f64 v[93:94], v[95:96], v[0:1], v[93:94]
	v_mul_f64 v[0:1], v[97:98], v[0:1]
	v_fma_f64 v[95:96], v[95:96], v[2:3], -v[0:1]
	ds_load_b128 v[0:3], v4 offset:16896
	s_waitcnt lgkmcnt(0)
	v_mul_f64 v[97:98], v[101:102], v[2:3]
	s_delay_alu instid0(VALU_DEP_1) | instskip(SKIP_1) | instid1(VALU_DEP_1)
	v_fma_f64 v[97:98], v[99:100], v[0:1], v[97:98]
	v_mul_f64 v[0:1], v[101:102], v[0:1]
	v_fma_f64 v[99:100], v[99:100], v[2:3], -v[0:1]
	ds_load_b128 v[0:3], v4 offset:21504
	s_waitcnt vmcnt(1) lgkmcnt(0)
	v_mul_f64 v[101:102], v[105:106], v[2:3]
	s_delay_alu instid0(VALU_DEP_1) | instskip(SKIP_1) | instid1(VALU_DEP_1)
	v_fma_f64 v[101:102], v[103:104], v[0:1], v[101:102]
	v_mul_f64 v[0:1], v[105:106], v[0:1]
	v_fma_f64 v[103:104], v[103:104], v[2:3], -v[0:1]
	ds_load_b128 v[0:3], v4 offset:26112
	s_waitcnt lgkmcnt(0)
	v_mul_f64 v[105:106], v[109:110], v[2:3]
	s_delay_alu instid0(VALU_DEP_1) | instskip(SKIP_1) | instid1(VALU_DEP_1)
	v_fma_f64 v[105:106], v[107:108], v[0:1], v[105:106]
	v_mul_f64 v[0:1], v[109:110], v[0:1]
	v_fma_f64 v[107:108], v[107:108], v[2:3], -v[0:1]
	ds_load_b128 v[0:3], v4 offset:30720
	s_waitcnt lgkmcnt(0)
	v_mul_f64 v[109:110], v[113:114], v[2:3]
	s_delay_alu instid0(VALU_DEP_1) | instskip(SKIP_1) | instid1(VALU_DEP_1)
	v_fma_f64 v[109:110], v[111:112], v[0:1], v[109:110]
	v_mul_f64 v[0:1], v[113:114], v[0:1]
	v_fma_f64 v[111:112], v[111:112], v[2:3], -v[0:1]
	ds_load_b128 v[0:3], v4 offset:35328
	s_waitcnt vmcnt(0) lgkmcnt(0)
	v_mul_f64 v[113:114], v[117:118], v[2:3]
	s_delay_alu instid0(VALU_DEP_1) | instskip(SKIP_1) | instid1(VALU_DEP_1)
	v_fma_f64 v[113:114], v[115:116], v[0:1], v[113:114]
	v_mul_f64 v[0:1], v[117:118], v[0:1]
	v_fma_f64 v[115:116], v[115:116], v[2:3], -v[0:1]
	ds_load_b128 v[0:3], v4 offset:39936
	s_waitcnt lgkmcnt(0)
	v_mul_f64 v[117:118], v[121:122], v[2:3]
	s_delay_alu instid0(VALU_DEP_1) | instskip(SKIP_1) | instid1(VALU_DEP_1)
	v_fma_f64 v[117:118], v[119:120], v[0:1], v[117:118]
	v_mul_f64 v[0:1], v[121:122], v[0:1]
	v_fma_f64 v[119:120], v[119:120], v[2:3], -v[0:1]
	ds_load_b128 v[0:3], v4 offset:44544
	s_waitcnt lgkmcnt(0)
	v_mul_f64 v[121:122], v[125:126], v[2:3]
	s_delay_alu instid0(VALU_DEP_1) | instskip(SKIP_1) | instid1(VALU_DEP_1)
	v_fma_f64 v[121:122], v[123:124], v[0:1], v[121:122]
	v_mul_f64 v[0:1], v[125:126], v[0:1]
	v_fma_f64 v[123:124], v[123:124], v[2:3], -v[0:1]
	scratch_load_b64 v[3:4], off, off offset:4 ; 8-byte Folded Reload
	s_waitcnt vmcnt(0)
	v_mad_u64_u32 v[125:126], null, s6, v3, 0
	s_delay_alu instid0(VALU_DEP_1) | instskip(NEXT) | instid1(VALU_DEP_1)
	v_mov_b32_e32 v0, v126
	v_mad_u64_u32 v[1:2], null, s7, v3, v[0:1]
	s_mov_b32 s6, 0x16c16c17
	s_mov_b32 s7, 0x3f36c16c
	s_delay_alu instid0(SALU_CYCLE_1) | instskip(NEXT) | instid1(VALU_DEP_2)
	v_mul_f64 v[2:3], v[7:8], s[6:7]
	v_mov_b32_e32 v126, v1
	v_mul_f64 v[0:1], v[5:6], s[6:7]
	v_mad_u64_u32 v[4:5], null, s4, v158, 0
	s_delay_alu instid0(VALU_DEP_1) | instskip(NEXT) | instid1(VALU_DEP_1)
	v_mad_u64_u32 v[6:7], null, s5, v158, v[5:6]
	v_mov_b32_e32 v5, v6
	v_lshlrev_b64 v[6:7], 4, v[125:126]
	s_delay_alu instid0(VALU_DEP_2) | instskip(NEXT) | instid1(VALU_DEP_2)
	v_lshlrev_b64 v[4:5], 4, v[4:5]
	v_add_co_u32 v146, vcc_lo, s0, v6
	s_delay_alu instid0(VALU_DEP_3) | instskip(SKIP_1) | instid1(VALU_DEP_2)
	v_add_co_ci_u32_e32 v153, vcc_lo, s1, v7, vcc_lo
	s_mul_i32 s0, s5, 0x1200
	v_add_co_u32 v4, vcc_lo, v146, v4
	s_delay_alu instid0(VALU_DEP_2) | instskip(SKIP_1) | instid1(SALU_CYCLE_1)
	v_add_co_ci_u32_e32 v5, vcc_lo, v153, v5, vcc_lo
	s_mul_hi_u32 s1, s4, 0x1200
	s_add_i32 s9, s1, s0
	s_mul_i32 s0, s5, 0x2400
	s_mul_hi_u32 s1, s4, 0x2400
	global_store_b128 v[4:5], v[0:3], off
	v_mul_f64 v[0:1], v[9:10], s[6:7]
	scratch_load_b32 v10, off, off offset:1116 ; 4-byte Folded Reload
	v_mul_f64 v[2:3], v[11:12], s[6:7]
	v_add_co_u32 v4, vcc_lo, v4, s8
	v_add_co_ci_u32_e32 v5, vcc_lo, s9, v5, vcc_lo
	s_add_i32 s11, s1, s0
	s_mul_i32 s0, s5, 0xffff6400
	s_mul_i32 s1, s5, 0xffff7600
	s_sub_i32 s0, s0, s4
	s_sub_i32 s2, s1, s4
	global_store_b128 v[4:5], v[0:3], off
	v_mul_f64 v[0:1], v[13:14], s[6:7]
	v_mul_f64 v[2:3], v[15:16], s[6:7]
	v_add_co_u32 v4, vcc_lo, v4, s8
	v_add_co_ci_u32_e32 v5, vcc_lo, s9, v5, vcc_lo
	scratch_load_b32 v16, off, off          ; 4-byte Folded Reload
	global_store_b128 v[4:5], v[0:3], off
	v_mul_f64 v[0:1], v[17:18], s[6:7]
	s_clause 0x1
	scratch_load_b32 v18, off, off offset:504
	scratch_load_b32 v17, off, off offset:12
	v_mul_f64 v[2:3], v[19:20], s[6:7]
	v_add_co_u32 v4, vcc_lo, v4, s8
	v_add_co_ci_u32_e32 v5, vcc_lo, s9, v5, vcc_lo
	global_store_b128 v[4:5], v[0:3], off
	v_mul_f64 v[0:1], v[21:22], s[6:7]
	v_mul_f64 v[2:3], v[23:24], s[6:7]
	s_waitcnt vmcnt(3)
	v_mad_u64_u32 v[6:7], null, s4, v10, 0
	s_delay_alu instid0(VALU_DEP_1) | instskip(NEXT) | instid1(VALU_DEP_1)
	v_mad_u64_u32 v[8:9], null, s5, v10, v[7:8]
	v_mov_b32_e32 v7, v8
	s_delay_alu instid0(VALU_DEP_1) | instskip(NEXT) | instid1(VALU_DEP_1)
	v_lshlrev_b64 v[6:7], 4, v[6:7]
	v_add_co_u32 v6, vcc_lo, v146, v6
	s_delay_alu instid0(VALU_DEP_2)
	v_add_co_ci_u32_e32 v7, vcc_lo, v153, v7, vcc_lo
	v_add_co_u32 v8, vcc_lo, v4, s10
	v_add_co_ci_u32_e32 v9, vcc_lo, s11, v5, vcc_lo
	global_store_b128 v[6:7], v[0:3], off
	v_mul_f64 v[0:1], v[25:26], s[6:7]
	v_mul_f64 v[2:3], v[27:28], s[6:7]
	v_mul_f64 v[4:5], v[33:34], s[6:7]
	v_mul_f64 v[6:7], v[35:36], s[6:7]
	v_mul_f64 v[34:35], v[87:88], s[6:7]
	s_waitcnt vmcnt(2)
	v_mad_u64_u32 v[10:11], null, s4, v16, 0
	global_store_b128 v[8:9], v[0:3], off
	v_mul_f64 v[0:1], v[29:30], s[6:7]
	v_mul_f64 v[2:3], v[31:32], s[6:7]
	v_add_co_u32 v8, vcc_lo, v8, s8
	v_add_co_ci_u32_e32 v9, vcc_lo, s9, v9, vcc_lo
	s_waitcnt vmcnt(1)
	v_mad_u64_u32 v[12:13], null, s4, v18, 0
	s_waitcnt vmcnt(0)
	v_mad_u64_u32 v[14:15], null, s4, v17, 0
	v_mul_f64 v[32:33], v[85:86], s[6:7]
	global_store_b128 v[8:9], v[0:3], off
	v_dual_mov_b32 v0, v11 :: v_dual_mov_b32 v1, v13
	v_add_co_u32 v8, vcc_lo, v8, s8
	v_add_co_ci_u32_e32 v9, vcc_lo, s9, v9, vcc_lo
	s_delay_alu instid0(VALU_DEP_3)
	v_mad_u64_u32 v[2:3], null, s5, v16, v[0:1]
	v_mov_b32_e32 v0, v15
	global_store_b128 v[8:9], v[4:7], off
	v_mad_u64_u32 v[3:4], null, s5, v18, v[1:2]
	v_mad_u64_u32 v[4:5], null, s5, v17, v[0:1]
	scratch_load_b32 v1, off, off offset:16 ; 4-byte Folded Reload
	v_mov_b32_e32 v11, v2
	scratch_load_b32 v2, off, off offset:508 ; 4-byte Folded Reload
	v_mov_b32_e32 v13, v3
	v_mov_b32_e32 v15, v4
	v_lshlrev_b64 v[24:25], 4, v[10:11]
	v_mul_f64 v[10:11], v[47:48], s[6:7]
	s_delay_alu instid0(VALU_DEP_4)
	v_lshlrev_b64 v[26:27], 4, v[12:13]
	v_mul_f64 v[12:13], v[49:50], s[6:7]
	v_lshlrev_b64 v[30:31], 4, v[14:15]
	v_mul_f64 v[14:15], v[51:52], s[6:7]
	v_mul_f64 v[48:49], v[101:102], s[6:7]
	v_mul_f64 v[50:51], v[103:104], s[6:7]
	s_waitcnt vmcnt(1)
	v_mad_u64_u32 v[16:17], null, s4, v1, 0
	s_waitcnt vmcnt(0)
	v_mad_u64_u32 v[18:19], null, s4, v2, 0
	s_delay_alu instid0(VALU_DEP_2) | instskip(NEXT) | instid1(VALU_DEP_1)
	v_mov_b32_e32 v0, v17
	v_mad_u64_u32 v[5:6], null, s5, v1, v[0:1]
	s_delay_alu instid0(VALU_DEP_3) | instskip(NEXT) | instid1(VALU_DEP_1)
	v_mov_b32_e32 v0, v19
	v_mad_u64_u32 v[6:7], null, s5, v2, v[0:1]
	scratch_load_b32 v7, off, off offset:20 ; 4-byte Folded Reload
	v_mul_f64 v[0:1], v[37:38], s[6:7]
	v_mul_f64 v[2:3], v[39:40], s[6:7]
	v_mov_b32_e32 v17, v5
	v_mul_f64 v[36:37], v[89:90], s[6:7]
	v_mul_f64 v[38:39], v[91:92], s[6:7]
	v_mov_b32_e32 v19, v6
	s_delay_alu instid0(VALU_DEP_4) | instskip(SKIP_1) | instid1(VALU_DEP_3)
	v_lshlrev_b64 v[129:130], 4, v[16:17]
	v_mul_f64 v[16:17], v[69:70], s[6:7]
	v_lshlrev_b64 v[133:134], 4, v[18:19]
	v_mul_f64 v[18:19], v[71:72], s[6:7]
	v_mul_f64 v[70:71], v[123:124], s[6:7]
	s_delay_alu instid0(VALU_DEP_3) | instskip(SKIP_2) | instid1(VALU_DEP_1)
	v_add_co_u32 v133, s1, v146, v133
	s_waitcnt vmcnt(0)
	v_mad_u64_u32 v[20:21], null, s4, v7, 0
	v_mov_b32_e32 v4, v21
	s_delay_alu instid0(VALU_DEP_1) | instskip(SKIP_4) | instid1(VALU_DEP_3)
	v_mad_u64_u32 v[21:22], null, s5, v7, v[4:5]
	v_add_co_u32 v22, vcc_lo, v8, s10
	v_add_co_ci_u32_e32 v23, vcc_lo, s11, v9, vcc_lo
	v_add_co_u32 v24, vcc_lo, v146, v24
	v_add_co_ci_u32_e32 v25, vcc_lo, v153, v25, vcc_lo
	v_mad_u64_u32 v[28:29], null, 0xffff6400, s4, v[22:23]
	v_mul_f64 v[4:5], v[41:42], s[6:7]
	v_mul_f64 v[6:7], v[43:44], s[6:7]
	;; [unrolled: 1-line block ×3, first 2 shown]
	global_store_b128 v[24:25], v[0:3], off
	v_mul_f64 v[2:3], v[55:56], s[6:7]
	v_lshlrev_b64 v[139:140], 4, v[20:21]
	v_add_nc_u32_e32 v29, s0, v29
	v_add_co_u32 v125, vcc_lo, v28, s10
	v_add_co_u32 v145, s0, v146, v30
	s_delay_alu instid0(VALU_DEP_3) | instskip(NEXT) | instid1(VALU_DEP_3)
	v_add_co_ci_u32_e32 v126, vcc_lo, s11, v29, vcc_lo
	v_add_co_u32 v127, vcc_lo, v125, s8
	v_mul_f64 v[20:21], v[73:74], s[6:7]
	s_delay_alu instid0(VALU_DEP_3) | instskip(NEXT) | instid1(VALU_DEP_3)
	v_add_co_ci_u32_e32 v128, vcc_lo, s9, v126, vcc_lo
	v_add_co_u32 v131, vcc_lo, v127, s8
	v_mul_f64 v[24:25], v[77:78], s[6:7]
	;; [unrolled: 4-line block ×5, first 2 shown]
	s_delay_alu instid0(VALU_DEP_3) | instskip(SKIP_2) | instid1(VALU_DEP_3)
	v_add_co_ci_u32_e32 v142, vcc_lo, s9, v138, vcc_lo
	v_add_co_u32 v0, vcc_lo, v146, v26
	v_add_co_ci_u32_e32 v1, vcc_lo, v153, v27, vcc_lo
	v_mad_u64_u32 v[143:144], null, 0xffff7600, s4, v[141:142]
	global_store_b128 v[22:23], v[4:7], off
	global_store_b128 v[28:29], v[8:11], off
	;; [unrolled: 1-line block ×3, first 2 shown]
	v_mul_f64 v[0:1], v[53:54], s[6:7]
	v_mul_f64 v[4:5], v[57:58], s[6:7]
	;; [unrolled: 1-line block ×3, first 2 shown]
	v_add_nc_u32_e32 v144, s2, v144
	v_mul_f64 v[8:9], v[61:62], s[6:7]
	v_mul_f64 v[10:11], v[63:64], s[6:7]
	;; [unrolled: 1-line block ×4, first 2 shown]
	v_add_co_u32 v147, s2, v143, s8
	v_mul_f64 v[22:23], v[75:76], s[6:7]
	v_add_co_ci_u32_e64 v148, s2, s9, v144, s2
	v_mul_f64 v[26:27], v[79:80], s[6:7]
	v_add_co_u32 v129, vcc_lo, v146, v129
	v_add_co_u32 v139, s2, v146, v139
	v_add_co_ci_u32_e64 v146, s0, v153, v31, s0
	v_mul_f64 v[28:29], v[81:82], s[6:7]
	v_mul_f64 v[30:31], v[83:84], s[6:7]
	v_add_co_u32 v149, s3, v147, s10
	v_mul_f64 v[46:47], v[99:100], s[6:7]
	v_add_co_ci_u32_e64 v150, s3, s11, v148, s3
	v_mul_f64 v[52:53], v[105:106], s[6:7]
	v_mul_f64 v[54:55], v[107:108], s[6:7]
	v_mul_f64 v[56:57], v[109:110], s[6:7]
	v_mul_f64 v[58:59], v[111:112], s[6:7]
	v_mul_f64 v[60:61], v[113:114], s[6:7]
	v_mul_f64 v[62:63], v[115:116], s[6:7]
	v_add_co_u32 v151, s0, v149, s8
	v_mul_f64 v[64:65], v[117:118], s[6:7]
	v_mul_f64 v[66:67], v[119:120], s[6:7]
	;; [unrolled: 1-line block ×3, first 2 shown]
	v_add_co_ci_u32_e64 v152, s0, s9, v150, s0
	v_add_co_u32 v72, s0, v151, s8
	v_add_co_ci_u32_e32 v130, vcc_lo, v153, v130, vcc_lo
	s_delay_alu instid0(VALU_DEP_3) | instskip(NEXT) | instid1(VALU_DEP_3)
	v_add_co_ci_u32_e64 v73, s0, s9, v152, s0
	v_add_co_u32 v74, vcc_lo, v72, s10
	s_delay_alu instid0(VALU_DEP_2) | instskip(SKIP_1) | instid1(VALU_DEP_3)
	v_add_co_ci_u32_e32 v75, vcc_lo, s11, v73, vcc_lo
	v_add_co_ci_u32_e64 v134, vcc_lo, v153, v134, s1
	v_add_co_u32 v76, vcc_lo, v74, s8
	s_delay_alu instid0(VALU_DEP_3) | instskip(SKIP_1) | instid1(VALU_DEP_3)
	v_add_co_ci_u32_e32 v77, vcc_lo, s9, v75, vcc_lo
	v_add_co_ci_u32_e64 v140, vcc_lo, v153, v140, s2
	v_add_co_u32 v78, vcc_lo, v76, s8
	s_delay_alu instid0(VALU_DEP_3)
	v_add_co_ci_u32_e32 v79, vcc_lo, s9, v77, vcc_lo
	global_store_b128 v[125:126], v[0:3], off
	global_store_b128 v[127:128], v[4:7], off
	;; [unrolled: 1-line block ×18, first 2 shown]
.LBB0_2:
	s_nop 0
	s_sendmsg sendmsg(MSG_DEALLOC_VGPRS)
	s_endpgm
	.section	.rodata,"a",@progbits
	.p2align	6, 0x0
	.amdhsa_kernel bluestein_single_back_len2880_dim1_dp_op_CI_CI
		.amdhsa_group_segment_fixed_size 46080
		.amdhsa_private_segment_fixed_size 1724
		.amdhsa_kernarg_size 104
		.amdhsa_user_sgpr_count 15
		.amdhsa_user_sgpr_dispatch_ptr 0
		.amdhsa_user_sgpr_queue_ptr 0
		.amdhsa_user_sgpr_kernarg_segment_ptr 1
		.amdhsa_user_sgpr_dispatch_id 0
		.amdhsa_user_sgpr_private_segment_size 0
		.amdhsa_wavefront_size32 1
		.amdhsa_uses_dynamic_stack 0
		.amdhsa_enable_private_segment 1
		.amdhsa_system_sgpr_workgroup_id_x 1
		.amdhsa_system_sgpr_workgroup_id_y 0
		.amdhsa_system_sgpr_workgroup_id_z 0
		.amdhsa_system_sgpr_workgroup_info 0
		.amdhsa_system_vgpr_workitem_id 0
		.amdhsa_next_free_vgpr 256
		.amdhsa_next_free_sgpr 32
		.amdhsa_reserve_vcc 1
		.amdhsa_float_round_mode_32 0
		.amdhsa_float_round_mode_16_64 0
		.amdhsa_float_denorm_mode_32 3
		.amdhsa_float_denorm_mode_16_64 3
		.amdhsa_dx10_clamp 1
		.amdhsa_ieee_mode 1
		.amdhsa_fp16_overflow 0
		.amdhsa_workgroup_processor_mode 1
		.amdhsa_memory_ordered 1
		.amdhsa_forward_progress 0
		.amdhsa_shared_vgpr_count 0
		.amdhsa_exception_fp_ieee_invalid_op 0
		.amdhsa_exception_fp_denorm_src 0
		.amdhsa_exception_fp_ieee_div_zero 0
		.amdhsa_exception_fp_ieee_overflow 0
		.amdhsa_exception_fp_ieee_underflow 0
		.amdhsa_exception_fp_ieee_inexact 0
		.amdhsa_exception_int_div_zero 0
	.end_amdhsa_kernel
	.text
.Lfunc_end0:
	.size	bluestein_single_back_len2880_dim1_dp_op_CI_CI, .Lfunc_end0-bluestein_single_back_len2880_dim1_dp_op_CI_CI
                                        ; -- End function
	.section	.AMDGPU.csdata,"",@progbits
; Kernel info:
; codeLenInByte = 46908
; NumSgprs: 34
; NumVgprs: 256
; ScratchSize: 1724
; MemoryBound: 0
; FloatMode: 240
; IeeeMode: 1
; LDSByteSize: 46080 bytes/workgroup (compile time only)
; SGPRBlocks: 4
; VGPRBlocks: 31
; NumSGPRsForWavesPerEU: 34
; NumVGPRsForWavesPerEU: 256
; Occupancy: 2
; WaveLimiterHint : 1
; COMPUTE_PGM_RSRC2:SCRATCH_EN: 1
; COMPUTE_PGM_RSRC2:USER_SGPR: 15
; COMPUTE_PGM_RSRC2:TRAP_HANDLER: 0
; COMPUTE_PGM_RSRC2:TGID_X_EN: 1
; COMPUTE_PGM_RSRC2:TGID_Y_EN: 0
; COMPUTE_PGM_RSRC2:TGID_Z_EN: 0
; COMPUTE_PGM_RSRC2:TIDIG_COMP_CNT: 0
	.text
	.p2alignl 7, 3214868480
	.fill 96, 4, 3214868480
	.type	__hip_cuid_49cc093c6c42a3e6,@object ; @__hip_cuid_49cc093c6c42a3e6
	.section	.bss,"aw",@nobits
	.globl	__hip_cuid_49cc093c6c42a3e6
__hip_cuid_49cc093c6c42a3e6:
	.byte	0                               ; 0x0
	.size	__hip_cuid_49cc093c6c42a3e6, 1

	.ident	"AMD clang version 19.0.0git (https://github.com/RadeonOpenCompute/llvm-project roc-6.4.0 25133 c7fe45cf4b819c5991fe208aaa96edf142730f1d)"
	.section	".note.GNU-stack","",@progbits
	.addrsig
	.addrsig_sym __hip_cuid_49cc093c6c42a3e6
	.amdgpu_metadata
---
amdhsa.kernels:
  - .args:
      - .actual_access:  read_only
        .address_space:  global
        .offset:         0
        .size:           8
        .value_kind:     global_buffer
      - .actual_access:  read_only
        .address_space:  global
        .offset:         8
        .size:           8
        .value_kind:     global_buffer
      - .actual_access:  read_only
        .address_space:  global
        .offset:         16
        .size:           8
        .value_kind:     global_buffer
      - .actual_access:  read_only
        .address_space:  global
        .offset:         24
        .size:           8
        .value_kind:     global_buffer
      - .actual_access:  read_only
        .address_space:  global
        .offset:         32
        .size:           8
        .value_kind:     global_buffer
      - .offset:         40
        .size:           8
        .value_kind:     by_value
      - .address_space:  global
        .offset:         48
        .size:           8
        .value_kind:     global_buffer
      - .address_space:  global
        .offset:         56
        .size:           8
        .value_kind:     global_buffer
      - .address_space:  global
        .offset:         64
        .size:           8
        .value_kind:     global_buffer
      - .address_space:  global
        .offset:         72
        .size:           8
        .value_kind:     global_buffer
      - .offset:         80
        .size:           4
        .value_kind:     by_value
      - .address_space:  global
        .offset:         88
        .size:           8
        .value_kind:     global_buffer
      - .address_space:  global
        .offset:         96
        .size:           8
        .value_kind:     global_buffer
    .group_segment_fixed_size: 46080
    .kernarg_segment_align: 8
    .kernarg_segment_size: 104
    .language:       OpenCL C
    .language_version:
      - 2
      - 0
    .max_flat_workgroup_size: 96
    .name:           bluestein_single_back_len2880_dim1_dp_op_CI_CI
    .private_segment_fixed_size: 1724
    .sgpr_count:     34
    .sgpr_spill_count: 0
    .symbol:         bluestein_single_back_len2880_dim1_dp_op_CI_CI.kd
    .uniform_work_group_size: 1
    .uses_dynamic_stack: false
    .vgpr_count:     256
    .vgpr_spill_count: 430
    .wavefront_size: 32
    .workgroup_processor_mode: 1
amdhsa.target:   amdgcn-amd-amdhsa--gfx1100
amdhsa.version:
  - 1
  - 2
...

	.end_amdgpu_metadata
